;; amdgpu-corpus repo=ROCm/rocSOLVER kind=compiled arch=gfx906 opt=O3
	.amdgcn_target "amdgcn-amd-amdhsa--gfx906"
	.amdhsa_code_object_version 6
	.section	.text._ZN9rocsolver6v33100L11lasr_kernelIffPfiEEv13rocblas_side_14rocblas_pivot_15rocblas_direct_T2_S6_PT0_lS8_lT1_lS6_lS6_,"axG",@progbits,_ZN9rocsolver6v33100L11lasr_kernelIffPfiEEv13rocblas_side_14rocblas_pivot_15rocblas_direct_T2_S6_PT0_lS8_lT1_lS6_lS6_,comdat
	.globl	_ZN9rocsolver6v33100L11lasr_kernelIffPfiEEv13rocblas_side_14rocblas_pivot_15rocblas_direct_T2_S6_PT0_lS8_lT1_lS6_lS6_ ; -- Begin function _ZN9rocsolver6v33100L11lasr_kernelIffPfiEEv13rocblas_side_14rocblas_pivot_15rocblas_direct_T2_S6_PT0_lS8_lT1_lS6_lS6_
	.p2align	8
	.type	_ZN9rocsolver6v33100L11lasr_kernelIffPfiEEv13rocblas_side_14rocblas_pivot_15rocblas_direct_T2_S6_PT0_lS8_lT1_lS6_lS6_,@function
_ZN9rocsolver6v33100L11lasr_kernelIffPfiEEv13rocblas_side_14rocblas_pivot_15rocblas_direct_T2_S6_PT0_lS8_lT1_lS6_lS6_: ; @_ZN9rocsolver6v33100L11lasr_kernelIffPfiEEv13rocblas_side_14rocblas_pivot_15rocblas_direct_T2_S6_PT0_lS8_lT1_lS6_lS6_
; %bb.0:
	s_load_dword s33, s[4:5], 0x58
	s_waitcnt lgkmcnt(0)
	s_cmp_ge_u32 s7, s33
	s_cbranch_scc1 .LBB0_108
; %bb.1:
	s_load_dword s24, s[4:5], 0x48
	s_load_dwordx2 s[26:27], s[4:5], 0x68
	s_load_dwordx4 s[20:23], s[4:5], 0x38
	s_load_dwordx4 s[16:19], s[4:5], 0x0
	s_load_dword s90, s[4:5], 0x10
	s_waitcnt lgkmcnt(0)
	s_ashr_i32 s25, s24, 31
	s_and_b32 s45, s27, 0xffff
	s_mul_i32 s6, s6, s45
	s_lshl_b64 s[2:3], s[22:23], 2
	v_add_u32_e32 v0, s6, v0
	s_add_u32 s6, s20, s2
	s_addc_u32 s27, s21, s3
	s_cmpk_eq_i32 s16, 0x8d
	s_cselect_b64 s[0:1], -1, 0
	s_cmpk_eq_i32 s16, 0x8e
	s_cselect_b64 s[8:9], -1, 0
	;; [unrolled: 2-line block ×7, first 2 shown]
	s_and_b64 s[22:23], s[0:1], s[10:11]
	s_and_b64 s[30:31], s[0:1], s[14:15]
	;; [unrolled: 1-line block ×5, first 2 shown]
	s_xor_b64 s[36:37], s[0:1], -1
	s_and_b64 s[0:1], s[8:9], s[10:11]
	s_and_b64 s[10:11], s[0:1], s[40:41]
	;; [unrolled: 1-line block ×3, first 2 shown]
	s_xor_b64 s[0:1], s[0:1], -1
                                        ; implicit-def: $vgpr42 : SGPR spill to VGPR lane
	s_xor_b64 s[38:39], s[10:11], -1
	v_writelane_b32 v42, s0, 0
	v_writelane_b32 v42, s1, 1
	s_and_b64 s[0:1], s[8:9], s[14:15]
	s_and_b64 s[10:11], s[0:1], s[40:41]
	s_xor_b64 s[10:11], s[10:11], -1
	v_writelane_b32 v42, s10, 2
	s_and_b64 s[0:1], s[0:1], s[42:43]
	v_writelane_b32 v42, s11, 3
	s_xor_b64 s[0:1], s[0:1], -1
	v_writelane_b32 v42, s0, 4
	s_and_b64 s[8:9], s[8:9], s[12:13]
	v_writelane_b32 v42, s1, 5
	s_and_b64 s[0:1], s[8:9], s[40:41]
	s_xor_b64 s[0:1], s[0:1], -1
	v_writelane_b32 v42, s0, 6
	v_writelane_b32 v42, s1, 7
	v_cmp_gt_i32_e64 s[0:1], s19, v0
	s_and_b64 s[10:11], s[42:43], s[0:1]
	s_and_b64 s[8:9], s[8:9], s[10:11]
	;; [unrolled: 1-line block ×6, first 2 shown]
	v_writelane_b32 v42, s8, 8
	s_xor_b64 s[16:17], s[16:17], -1
	s_xor_b64 s[22:23], s[22:23], -1
	;; [unrolled: 1-line block ×5, first 2 shown]
	v_writelane_b32 v42, s9, 9
	s_add_i32 s91, s90, -1
	s_add_i32 s50, s90, -2
	s_load_dwordx8 s[8:15], s[4:5], 0x18
	s_cmp_gt_i32 s90, 1
	s_cselect_b64 s[52:53], -1, 0
	s_ashr_i32 s55, s19, 31
	s_add_i32 s40, s19, -2
	s_cmp_gt_i32 s19, 1
	s_mov_b32 s51, 0
	s_cselect_b64 s[56:57], -1, 0
	s_lshl_b64 s[42:43], s[50:51], 2
	s_waitcnt lgkmcnt(0)
	s_add_u32 s18, s8, s42
	s_addc_u32 s92, s9, s43
	s_lshl_b64 s[10:11], s[10:11], 2
	s_load_dword s44, s[4:5], 0x60
	v_writelane_b32 v42, s18, 10
	s_add_u32 s93, s12, s42
	s_mul_i32 s18, s25, s50
	s_mul_hi_u32 s41, s24, s50
	s_addc_u32 s94, s13, s43
	s_add_i32 s43, s41, s18
	s_mul_i32 s42, s24, s50
	s_lshl_b64 s[42:43], s[42:43], 2
	s_lshl_b64 s[14:15], s[14:15], 2
	s_load_dwordx2 s[4:5], s[4:5], 0x50
	s_add_u32 s18, s42, s2
	s_addc_u32 s41, s43, s3
	s_add_u32 s18, s20, s18
	v_ashrrev_i32_e32 v1, 31, v0
	s_waitcnt lgkmcnt(0)
	s_mul_i32 s58, s44, s45
	s_addc_u32 s41, s21, s41
	v_lshlrev_b64 v[1:2], 2, v[0:1]
	s_ashr_i32 s59, s58, 31
	s_lshl_b64 s[60:61], s[4:5], 2
	s_lshl_b64 s[62:63], s[58:59], 2
	;; [unrolled: 1-line block ×3, first 2 shown]
	v_add_co_u32_e32 v16, vcc, s18, v1
	s_sub_u32 s59, 0, s64
	s_mul_i32 s18, s25, s91
	s_mul_hi_u32 s25, s24, s91
	s_mul_i32 s66, s24, s91
	s_subb_u32 s95, 0, s65
	s_add_i32 s43, s25, s18
	s_mov_b32 s42, s66
	s_lshl_b64 s[42:43], s[42:43], 2
	s_add_i32 s25, s90, 1
	v_mov_b32_e32 v3, s41
	s_add_u32 s18, s42, s2
	v_addc_co_u32_e32 v17, vcc, v3, v2, vcc
	s_addc_u32 s41, s43, s3
	v_mov_b32_e32 v3, s27
	v_add_co_u32_e32 v18, vcc, s6, v1
	s_add_u32 s18, s20, s18
	v_addc_co_u32_e32 v19, vcc, v3, v2, vcc
	s_addc_u32 s41, s21, s41
	v_mov_b32_e32 v3, s41
	v_add_co_u32_e32 v20, vcc, s18, v1
	s_add_u32 s18, s2, s64
	v_addc_co_u32_e32 v21, vcc, v3, v2, vcc
	s_addc_u32 s41, s3, s65
	v_mad_i64_i32 v[3:4], s[42:43], s24, v0, 0
	s_add_u32 s18, s20, s18
	s_addc_u32 s41, s21, s41
	v_mov_b32_e32 v5, s41
	v_add_co_u32_e32 v22, vcc, s18, v1
	v_addc_co_u32_e32 v23, vcc, v5, v2, vcc
	v_lshlrev_b64 v[1:2], 2, v[3:4]
	s_mov_b32 s41, s51
	v_mov_b32_e32 v3, s3
	v_add_co_u32_e32 v1, vcc, s2, v1
	s_add_i32 s50, s19, -1
	s_lshl_b64 s[2:3], s[40:41], 2
	s_add_u32 s48, s8, s2
	s_addc_u32 s49, s9, s3
	s_add_u32 s46, s12, s2
	s_addc_u32 s47, s13, s3
	s_add_u32 s2, s20, s2
	v_addc_co_u32_e32 v2, vcc, v2, v3, vcc
	s_addc_u32 s3, s21, s3
	v_mov_b32_e32 v3, s3
	v_add_co_u32_e32 v24, vcc, s2, v1
	s_mul_hi_i32 s3, s24, s58
	s_mul_i32 s2, s24, s58
	v_addc_co_u32_e32 v25, vcc, v3, v2, vcc
	s_lshl_b64 s[68:69], s[2:3], 2
	s_add_i32 s44, s19, 1
	s_lshl_b64 s[2:3], s[50:51], 2
	s_add_u32 s2, s20, s2
	v_mov_b32_e32 v3, s21
	v_add_co_u32_e32 v26, vcc, s20, v1
	s_addc_u32 s3, s21, s3
	v_addc_co_u32_e32 v27, vcc, v3, v2, vcc
	v_mov_b32_e32 v3, s3
	v_add_co_u32_e32 v28, vcc, s2, v1
	v_addc_co_u32_e32 v29, vcc, v3, v2, vcc
	v_add_co_u32_e32 v30, vcc, 4, v26
	v_addc_co_u32_e32 v31, vcc, 0, v27, vcc
	;; [unrolled: 2-line block ×3, first 2 shown]
	s_mul_hi_i32 s67, s24, s91
	s_mov_b32 s54, s19
	v_mov_b32_e32 v34, 0
	v_cmp_gt_i32_e64 s[2:3], s90, v0
	s_branch .LBB0_4
.LBB0_2:                                ;   in Loop: Header=BB0_4 Depth=1
	s_or_b64 exec, exec, s[72:73]
.LBB0_3:                                ;   in Loop: Header=BB0_4 Depth=1
	s_add_i32 s7, s7, s26
	s_cmp_ge_u32 s7, s33
	s_cbranch_scc1 .LBB0_108
.LBB0_4:                                ; =>This Loop Header: Depth=1
                                        ;     Child Loop BB0_19 Depth 2
                                        ;       Child Loop BB0_20 Depth 3
                                        ;     Child Loop BB0_26 Depth 2
                                        ;       Child Loop BB0_27 Depth 3
	;; [unrolled: 2-line block ×12, first 2 shown]
	s_mul_i32 s18, s61, s7
	s_mul_hi_u32 s20, s60, s7
	s_add_i32 s43, s20, s18
	s_mul_i32 s18, s11, s7
	s_mul_hi_u32 s20, s10, s7
	s_add_i32 s40, s20, s18
	s_mul_i32 s41, s10, s7
	s_add_u32 s20, s8, s41
	s_mul_i32 s18, s15, s7
	s_mul_hi_u32 s45, s14, s7
	s_addc_u32 s21, s9, s40
	s_add_i32 s79, s45, s18
	s_mul_i32 s78, s14, s7
	s_add_u32 s70, s12, s78
	s_mul_i32 s18, s5, s7
	s_mul_hi_u32 s45, s4, s7
	s_mul_i32 s42, s60, s7
	s_addc_u32 s71, s13, s79
	s_add_i32 s73, s45, s18
	s_mul_i32 s72, s4, s7
	v_mov_b32_e32 v2, s43
	v_add_co_u32_e32 v1, vcc, s42, v30
	s_lshl_b64 s[72:73], s[72:73], 2
	v_addc_co_u32_e32 v2, vcc, v31, v2, vcc
	s_add_u32 s45, s6, s72
	s_addc_u32 s51, s27, s73
	s_and_b64 vcc, exec, s[16:17]
	s_mov_b64 s[72:73], -1
	s_cbranch_vccnz .LBB0_6
; %bb.5:                                ;   in Loop: Header=BB0_4 Depth=1
	s_andn2_b64 vcc, exec, s[72:73]
	s_cbranch_vccnz .LBB0_3
	s_branch .LBB0_103
.LBB0_6:                                ;   in Loop: Header=BB0_4 Depth=1
	s_add_u32 s72, s48, s41
	s_addc_u32 s73, s49, s40
	s_add_u32 s74, s46, s78
	s_addc_u32 s75, s47, s79
	s_mov_b64 s[76:77], -1
	s_and_b64 vcc, exec, s[22:23]
	s_cbranch_vccz .LBB0_95
; %bb.7:                                ;   in Loop: Header=BB0_4 Depth=1
	s_and_b64 vcc, exec, s[28:29]
	s_cbranch_vccz .LBB0_87
; %bb.8:                                ;   in Loop: Header=BB0_4 Depth=1
	;; [unrolled: 3-line block ×3, first 2 shown]
	s_and_b64 vcc, exec, s[34:35]
	s_cbranch_vccz .LBB0_71
; %bb.10:                               ;   in Loop: Header=BB0_4 Depth=1
	s_and_b64 vcc, exec, s[36:37]
	s_cbranch_vccz .LBB0_63
; %bb.11:                               ;   in Loop: Header=BB0_4 Depth=1
	v_mov_b32_e32 v4, s43
	v_add_co_u32_e32 v3, vcc, s42, v18
	v_addc_co_u32_e32 v4, vcc, v19, v4, vcc
	s_and_b64 vcc, exec, s[38:39]
	s_cbranch_vccz .LBB0_55
; %bb.12:                               ;   in Loop: Header=BB0_4 Depth=1
	v_mov_b32_e32 v6, s43
	v_add_co_u32_e32 v5, vcc, s42, v20
	v_readlane_b32 s18, v42, 10
	v_addc_co_u32_e32 v6, vcc, v21, v6, vcc
	s_add_u32 s76, s18, s41
	s_addc_u32 s77, s92, s40
	v_mov_b32_e32 v8, s43
	v_add_co_u32_e32 v7, vcc, s42, v16
	v_readlane_b32 s40, v42, 0
	s_add_u32 s78, s93, s78
	v_addc_co_u32_e32 v8, vcc, v17, v8, vcc
	v_readlane_b32 s41, v42, 1
	s_addc_u32 s79, s94, s79
	s_mov_b64 s[80:81], -1
	s_and_b64 vcc, exec, s[40:41]
	s_cbranch_vccz .LBB0_46
; %bb.13:                               ;   in Loop: Header=BB0_4 Depth=1
	v_readlane_b32 s40, v42, 2
	v_readlane_b32 s41, v42, 3
	s_and_b64 vcc, exec, s[40:41]
	s_cbranch_vccz .LBB0_38
; %bb.14:                               ;   in Loop: Header=BB0_4 Depth=1
	v_readlane_b32 s40, v42, 4
	v_readlane_b32 s41, v42, 5
	;; [unrolled: 5-line block ×3, first 2 shown]
	s_and_b64 vcc, exec, s[40:41]
	s_cbranch_vccz .LBB0_22
; %bb.16:                               ;   in Loop: Header=BB0_4 Depth=1
	s_mov_b64 s[80:81], exec
	v_readlane_b32 s40, v42, 8
	v_readlane_b32 s41, v42, 9
	s_and_b64 s[40:41], s[80:81], s[40:41]
	s_mov_b64 exec, s[40:41]
	s_cbranch_execz .LBB0_21
; %bb.17:                               ;   in Loop: Header=BB0_4 Depth=1
	s_lshl_b64 s[40:41], s[66:67], 2
	s_add_u32 s40, s45, s40
	v_mov_b32_e32 v10, v8
	s_addc_u32 s41, s51, s41
	s_mov_b64 s[82:83], 0
	v_mov_b32_e32 v9, v7
	v_mov_b32_e32 v11, v0
	s_branch .LBB0_19
.LBB0_18:                               ;   in Loop: Header=BB0_19 Depth=2
	v_add_u32_e32 v11, s58, v11
	v_cmp_le_i32_e32 vcc, s19, v11
	s_waitcnt vmcnt(0)
	global_store_dword v[12:13], v35, off
	v_mov_b32_e32 v12, s63
	s_or_b64 s[82:83], vcc, s[82:83]
	v_add_co_u32_e32 v9, vcc, s62, v9
	v_addc_co_u32_e32 v10, vcc, v10, v12, vcc
	s_andn2_b64 exec, exec, s[82:83]
	s_cbranch_execz .LBB0_21
.LBB0_19:                               ;   Parent Loop BB0_4 Depth=1
                                        ; =>  This Loop Header: Depth=2
                                        ;       Child Loop BB0_20 Depth 3
	v_ashrrev_i32_e32 v12, 31, v11
	v_lshlrev_b64 v[12:13], 2, v[11:12]
	v_mov_b32_e32 v14, s41
	v_add_co_u32_e32 v12, vcc, s40, v12
	v_addc_co_u32_e32 v13, vcc, v14, v13, vcc
	global_load_dword v35, v[12:13], off
	v_mov_b32_e32 v15, v10
	s_andn2_b64 vcc, exec, s[52:53]
	v_mov_b32_e32 v14, v9
	s_mov_b64 s[84:85], s[78:79]
	s_mov_b64 s[86:87], s[76:77]
	s_mov_b32 s18, s91
	s_cbranch_vccnz .LBB0_18
.LBB0_20:                               ;   Parent Loop BB0_4 Depth=1
                                        ;     Parent Loop BB0_19 Depth=2
                                        ; =>    This Inner Loop Header: Depth=3
	global_load_dword v36, v[14:15], off
	global_load_dword v37, v34, s[86:87]
	global_load_dword v38, v34, s[84:85]
	s_add_i32 s18, s18, -1
	s_add_u32 s86, s86, -4
	s_addc_u32 s87, s87, -1
	s_add_u32 s84, s84, -4
	v_mov_b32_e32 v39, s95
	s_addc_u32 s85, s85, -1
	s_cmp_eq_u32 s18, 0
	s_waitcnt vmcnt(1)
	v_mul_f32_e32 v40, v37, v36
	s_waitcnt vmcnt(0)
	v_fmac_f32_e32 v40, v35, v38
	v_mul_f32_e32 v36, v38, v36
	global_store_dword v[14:15], v40, off
	v_add_co_u32_e32 v14, vcc, s59, v14
	v_fma_f32 v35, v35, v37, -v36
	v_addc_co_u32_e32 v15, vcc, v15, v39, vcc
	s_cbranch_scc0 .LBB0_20
	s_branch .LBB0_18
.LBB0_21:                               ;   in Loop: Header=BB0_4 Depth=1
	s_or_b64 exec, exec, s[80:81]
	s_mov_b64 s[80:81], 0
.LBB0_22:                               ;   in Loop: Header=BB0_4 Depth=1
	s_andn2_b64 vcc, exec, s[80:81]
	s_cbranch_vccnz .LBB0_29
; %bb.23:                               ;   in Loop: Header=BB0_4 Depth=1
	s_and_saveexec_b64 s[80:81], s[0:1]
	s_cbranch_execz .LBB0_28
; %bb.24:                               ;   in Loop: Header=BB0_4 Depth=1
	s_lshl_b64 s[40:41], s[66:67], 2
	s_add_u32 s40, s45, s40
	v_mov_b32_e32 v10, v4
	s_addc_u32 s41, s51, s41
	s_mov_b64 s[82:83], 0
	v_mov_b32_e32 v9, v3
	v_mov_b32_e32 v11, v0
	s_branch .LBB0_26
.LBB0_25:                               ;   in Loop: Header=BB0_26 Depth=2
	v_add_u32_e32 v11, s58, v11
	v_cmp_le_i32_e32 vcc, s19, v11
	s_waitcnt vmcnt(0)
	global_store_dword v[12:13], v35, off
	v_mov_b32_e32 v12, s63
	s_or_b64 s[82:83], vcc, s[82:83]
	v_add_co_u32_e32 v9, vcc, s62, v9
	v_addc_co_u32_e32 v10, vcc, v10, v12, vcc
	s_andn2_b64 exec, exec, s[82:83]
	s_cbranch_execz .LBB0_28
.LBB0_26:                               ;   Parent Loop BB0_4 Depth=1
                                        ; =>  This Loop Header: Depth=2
                                        ;       Child Loop BB0_27 Depth 3
	v_ashrrev_i32_e32 v12, 31, v11
	v_lshlrev_b64 v[12:13], 2, v[11:12]
	v_mov_b32_e32 v14, s41
	v_add_co_u32_e32 v12, vcc, s40, v12
	v_addc_co_u32_e32 v13, vcc, v14, v13, vcc
	global_load_dword v35, v[12:13], off
	v_mov_b32_e32 v15, v10
	s_andn2_b64 vcc, exec, s[52:53]
	v_mov_b32_e32 v14, v9
	s_mov_b64 s[84:85], s[70:71]
	s_mov_b64 s[86:87], s[20:21]
	s_mov_b32 s18, s91
	s_cbranch_vccnz .LBB0_25
.LBB0_27:                               ;   Parent Loop BB0_4 Depth=1
                                        ;     Parent Loop BB0_26 Depth=2
                                        ; =>    This Inner Loop Header: Depth=3
	global_load_dword v36, v[14:15], off
	global_load_dword v37, v34, s[86:87]
	global_load_dword v38, v34, s[84:85]
	s_add_i32 s18, s18, -1
	s_add_u32 s86, s86, 4
	s_addc_u32 s87, s87, 0
	s_add_u32 s84, s84, 4
	v_mov_b32_e32 v39, s65
	s_addc_u32 s85, s85, 0
	s_cmp_eq_u32 s18, 0
	s_waitcnt vmcnt(1)
	v_mul_f32_e32 v40, v37, v36
	s_waitcnt vmcnt(0)
	v_fmac_f32_e32 v40, v35, v38
	v_mul_f32_e32 v36, v38, v36
	global_store_dword v[14:15], v40, off
	v_add_co_u32_e32 v14, vcc, s64, v14
	v_fma_f32 v35, v35, v37, -v36
	v_addc_co_u32_e32 v15, vcc, v15, v39, vcc
	s_cbranch_scc0 .LBB0_27
	s_branch .LBB0_25
.LBB0_28:                               ;   in Loop: Header=BB0_4 Depth=1
	s_or_b64 exec, exec, s[80:81]
.LBB0_29:                               ;   in Loop: Header=BB0_4 Depth=1
	s_mov_b64 s[80:81], 0
.LBB0_30:                               ;   in Loop: Header=BB0_4 Depth=1
	s_andn2_b64 vcc, exec, s[80:81]
	s_cbranch_vccnz .LBB0_37
; %bb.31:                               ;   in Loop: Header=BB0_4 Depth=1
	s_and_saveexec_b64 s[80:81], s[0:1]
	s_cbranch_execz .LBB0_36
; %bb.32:                               ;   in Loop: Header=BB0_4 Depth=1
	v_mov_b32_e32 v10, v6
	s_mov_b64 s[82:83], 0
	v_mov_b32_e32 v9, v5
	v_mov_b32_e32 v11, v0
	s_branch .LBB0_34
.LBB0_33:                               ;   in Loop: Header=BB0_34 Depth=2
	v_add_u32_e32 v11, s58, v11
	v_cmp_le_i32_e32 vcc, s19, v11
	s_waitcnt vmcnt(0)
	global_store_dword v[12:13], v35, off
	v_mov_b32_e32 v12, s63
	s_or_b64 s[82:83], vcc, s[82:83]
	v_add_co_u32_e32 v9, vcc, s62, v9
	v_addc_co_u32_e32 v10, vcc, v10, v12, vcc
	s_andn2_b64 exec, exec, s[82:83]
	s_cbranch_execz .LBB0_36
.LBB0_34:                               ;   Parent Loop BB0_4 Depth=1
                                        ; =>  This Loop Header: Depth=2
                                        ;       Child Loop BB0_35 Depth 3
	v_ashrrev_i32_e32 v12, 31, v11
	v_lshlrev_b64 v[12:13], 2, v[11:12]
	v_mov_b32_e32 v14, s51
	v_add_co_u32_e32 v12, vcc, s45, v12
	v_addc_co_u32_e32 v13, vcc, v14, v13, vcc
	global_load_dword v35, v[12:13], off
	v_mov_b32_e32 v15, v10
	s_andn2_b64 vcc, exec, s[52:53]
	v_mov_b32_e32 v14, v9
	s_mov_b64 s[84:85], s[78:79]
	s_mov_b64 s[86:87], s[76:77]
	s_mov_b32 s18, s25
	s_cbranch_vccnz .LBB0_33
.LBB0_35:                               ;   Parent Loop BB0_4 Depth=1
                                        ;     Parent Loop BB0_34 Depth=2
                                        ; =>    This Inner Loop Header: Depth=3
	global_load_dword v36, v34, s[84:85]
	global_load_dword v37, v[14:15], off
	global_load_dword v38, v34, s[86:87]
	s_add_i32 s18, s18, -1
	s_waitcnt vmcnt(3)
	v_mov_b32_e32 v39, v35
	s_add_u32 s86, s86, -4
	s_addc_u32 s87, s87, -1
	s_add_u32 s84, s84, -4
	v_mov_b32_e32 v40, s95
	s_addc_u32 s85, s85, -1
	s_cmp_lt_u32 s18, 3
	s_waitcnt vmcnt(2)
	v_mul_f32_e32 v41, v39, v36
	s_waitcnt vmcnt(1)
	v_mul_f32_e32 v35, v36, v37
	s_waitcnt vmcnt(0)
	v_fma_f32 v36, v38, v37, -v41
	global_store_dword v[14:15], v36, off
	v_add_co_u32_e32 v14, vcc, s59, v14
	v_fmac_f32_e32 v35, v39, v38
	v_addc_co_u32_e32 v15, vcc, v15, v40, vcc
	s_cbranch_scc0 .LBB0_35
	s_branch .LBB0_33
.LBB0_36:                               ;   in Loop: Header=BB0_4 Depth=1
	s_or_b64 exec, exec, s[80:81]
.LBB0_37:                               ;   in Loop: Header=BB0_4 Depth=1
	s_mov_b64 s[80:81], 0
.LBB0_38:                               ;   in Loop: Header=BB0_4 Depth=1
	s_andn2_b64 vcc, exec, s[80:81]
	s_cbranch_vccnz .LBB0_45
; %bb.39:                               ;   in Loop: Header=BB0_4 Depth=1
	s_and_saveexec_b64 s[80:81], s[0:1]
	s_cbranch_execz .LBB0_44
; %bb.40:                               ;   in Loop: Header=BB0_4 Depth=1
	v_mov_b32_e32 v10, s43
	v_add_co_u32_e32 v9, vcc, s42, v22
	v_addc_co_u32_e32 v10, vcc, v23, v10, vcc
	s_mov_b64 s[82:83], 0
	v_mov_b32_e32 v11, v0
	s_branch .LBB0_42
.LBB0_41:                               ;   in Loop: Header=BB0_42 Depth=2
	v_add_u32_e32 v11, s58, v11
	v_cmp_le_i32_e32 vcc, s19, v11
	s_waitcnt vmcnt(0)
	global_store_dword v[12:13], v35, off
	v_mov_b32_e32 v12, s63
	s_or_b64 s[82:83], vcc, s[82:83]
	v_add_co_u32_e32 v9, vcc, s62, v9
	v_addc_co_u32_e32 v10, vcc, v10, v12, vcc
	s_andn2_b64 exec, exec, s[82:83]
	s_cbranch_execz .LBB0_44
.LBB0_42:                               ;   Parent Loop BB0_4 Depth=1
                                        ; =>  This Loop Header: Depth=2
                                        ;       Child Loop BB0_43 Depth 3
	v_ashrrev_i32_e32 v12, 31, v11
	v_lshlrev_b64 v[12:13], 2, v[11:12]
	v_mov_b32_e32 v14, s51
	v_add_co_u32_e32 v12, vcc, s45, v12
	v_addc_co_u32_e32 v13, vcc, v14, v13, vcc
	global_load_dword v35, v[12:13], off
	v_mov_b32_e32 v15, v10
	s_andn2_b64 vcc, exec, s[52:53]
	v_mov_b32_e32 v14, v9
	s_mov_b32 s18, s91
	s_mov_b64 s[84:85], s[20:21]
	s_mov_b64 s[86:87], s[70:71]
	s_cbranch_vccnz .LBB0_41
.LBB0_43:                               ;   Parent Loop BB0_4 Depth=1
                                        ;     Parent Loop BB0_42 Depth=2
                                        ; =>    This Inner Loop Header: Depth=3
	global_load_dword v36, v34, s[86:87]
	global_load_dword v37, v[14:15], off
	global_load_dword v38, v34, s[84:85]
	s_waitcnt vmcnt(3)
	v_mov_b32_e32 v39, v35
	s_add_u32 s86, s86, 4
	s_addc_u32 s87, s87, 0
	s_add_u32 s84, s84, 4
	v_mov_b32_e32 v40, s65
	s_addc_u32 s85, s85, 0
	s_add_i32 s18, s18, -1
	s_cmp_eq_u32 s18, 0
	s_waitcnt vmcnt(2)
	v_mul_f32_e32 v41, v39, v36
	s_waitcnt vmcnt(1)
	v_mul_f32_e32 v35, v36, v37
	s_waitcnt vmcnt(0)
	v_fma_f32 v36, v38, v37, -v41
	global_store_dword v[14:15], v36, off
	v_add_co_u32_e32 v14, vcc, s64, v14
	v_fmac_f32_e32 v35, v39, v38
	v_addc_co_u32_e32 v15, vcc, v15, v40, vcc
	s_cbranch_scc0 .LBB0_43
	s_branch .LBB0_41
.LBB0_44:                               ;   in Loop: Header=BB0_4 Depth=1
	s_or_b64 exec, exec, s[80:81]
.LBB0_45:                               ;   in Loop: Header=BB0_4 Depth=1
	s_mov_b64 s[80:81], 0
.LBB0_46:                               ;   in Loop: Header=BB0_4 Depth=1
	s_andn2_b64 vcc, exec, s[80:81]
	s_cbranch_vccnz .LBB0_54
; %bb.47:                               ;   in Loop: Header=BB0_4 Depth=1
	s_and_saveexec_b64 s[80:81], s[0:1]
	s_cbranch_execz .LBB0_53
; %bb.48:                               ;   in Loop: Header=BB0_4 Depth=1
	s_lshl_b64 s[40:41], s[66:67], 2
	s_add_u32 s40, s45, s40
	s_addc_u32 s41, s51, s41
	s_mov_b64 s[82:83], 0
	v_mov_b32_e32 v9, v0
	s_branch .LBB0_50
.LBB0_49:                               ;   in Loop: Header=BB0_50 Depth=2
	v_mov_b32_e32 v13, s51
	v_add_co_u32_e32 v10, vcc, s45, v10
	v_addc_co_u32_e32 v11, vcc, v13, v11, vcc
	s_waitcnt vmcnt(0)
	global_store_dword v[10:11], v12, off
	v_mov_b32_e32 v10, s63
	v_add_co_u32_e32 v5, vcc, s62, v5
	v_add_u32_e32 v9, s58, v9
	v_addc_co_u32_e32 v6, vcc, v6, v10, vcc
	v_cmp_le_i32_e32 vcc, s19, v9
	s_or_b64 s[82:83], vcc, s[82:83]
	v_add_co_u32_e32 v7, vcc, s62, v7
	v_addc_co_u32_e32 v8, vcc, v8, v10, vcc
	s_andn2_b64 exec, exec, s[82:83]
	s_cbranch_execz .LBB0_53
.LBB0_50:                               ;   Parent Loop BB0_4 Depth=1
                                        ; =>  This Loop Header: Depth=2
                                        ;       Child Loop BB0_52 Depth 3
	v_ashrrev_i32_e32 v10, 31, v9
	v_lshlrev_b64 v[10:11], 2, v[9:10]
	v_mov_b32_e32 v13, s41
	v_add_co_u32_e32 v12, vcc, s40, v10
	v_addc_co_u32_e32 v13, vcc, v13, v11, vcc
	global_load_dword v12, v[12:13], off
	s_andn2_b64 vcc, exec, s[52:53]
	s_cbranch_vccnz .LBB0_49
; %bb.51:                               ;   in Loop: Header=BB0_50 Depth=2
	s_mov_b64 s[84:85], 0
	s_mov_b64 s[86:87], s[78:79]
	;; [unrolled: 1-line block ×3, first 2 shown]
	s_mov_b32 s18, s91
.LBB0_52:                               ;   Parent Loop BB0_4 Depth=1
                                        ;     Parent Loop BB0_50 Depth=2
                                        ; =>    This Inner Loop Header: Depth=3
	v_mov_b32_e32 v35, s85
	v_add_co_u32_e32 v13, vcc, s84, v7
	v_addc_co_u32_e32 v14, vcc, v8, v35, vcc
	global_load_dword v15, v34, s[86:87]
	global_load_dword v36, v[13:14], off
	global_load_dword v37, v34, s[88:89]
	s_add_i32 s18, s18, -1
	v_add_co_u32_e32 v13, vcc, s84, v5
	s_sub_u32 s84, s84, s64
	s_subb_u32 s85, s85, s65
	s_add_u32 s88, s88, -4
	s_addc_u32 s89, s89, -1
	s_add_u32 s86, s86, -4
	s_waitcnt vmcnt(3)
	v_mov_b32_e32 v38, v12
	v_addc_co_u32_e32 v14, vcc, v6, v35, vcc
	s_addc_u32 s87, s87, -1
	s_cmp_eq_u32 s18, 0
	s_waitcnt vmcnt(1)
	v_mul_f32_e32 v35, v15, v36
	s_waitcnt vmcnt(0)
	v_mul_f32_e32 v12, v37, v36
	v_fma_f32 v35, v38, v37, -v35
	v_fmac_f32_e32 v12, v38, v15
	global_store_dword v[13:14], v35, off
	s_cbranch_scc0 .LBB0_52
	s_branch .LBB0_49
.LBB0_53:                               ;   in Loop: Header=BB0_4 Depth=1
	s_or_b64 exec, exec, s[80:81]
.LBB0_54:                               ;   in Loop: Header=BB0_4 Depth=1
	s_mov_b64 s[76:77], 0
.LBB0_55:                               ;   in Loop: Header=BB0_4 Depth=1
	s_andn2_b64 vcc, exec, s[76:77]
	s_cbranch_vccnz .LBB0_62
; %bb.56:                               ;   in Loop: Header=BB0_4 Depth=1
	s_and_saveexec_b64 s[76:77], s[0:1]
	s_cbranch_execz .LBB0_61
; %bb.57:                               ;   in Loop: Header=BB0_4 Depth=1
	s_lshl_b64 s[40:41], s[66:67], 2
	s_add_u32 s40, s45, s40
	s_addc_u32 s41, s51, s41
	s_mov_b64 s[78:79], 0
	v_mov_b32_e32 v5, v0
	s_branch .LBB0_59
.LBB0_58:                               ;   in Loop: Header=BB0_59 Depth=2
	v_mov_b32_e32 v8, s41
	v_add_co_u32_e32 v6, vcc, s40, v6
	v_addc_co_u32_e32 v7, vcc, v8, v7, vcc
	v_add_u32_e32 v5, s58, v5
	v_cmp_le_i32_e32 vcc, s19, v5
	s_waitcnt vmcnt(0)
	global_store_dword v[6:7], v10, off
	v_mov_b32_e32 v6, s63
	s_or_b64 s[78:79], vcc, s[78:79]
	v_add_co_u32_e32 v3, vcc, s62, v3
	v_addc_co_u32_e32 v4, vcc, v4, v6, vcc
	s_andn2_b64 exec, exec, s[78:79]
	s_cbranch_execz .LBB0_61
.LBB0_59:                               ;   Parent Loop BB0_4 Depth=1
                                        ; =>  This Loop Header: Depth=2
                                        ;       Child Loop BB0_60 Depth 3
	v_ashrrev_i32_e32 v6, 31, v5
	v_lshlrev_b64 v[6:7], 2, v[5:6]
	v_mov_b32_e32 v9, s51
	v_add_co_u32_e32 v8, vcc, s45, v6
	v_addc_co_u32_e32 v9, vcc, v9, v7, vcc
	global_load_dword v10, v[8:9], off
	v_mov_b32_e32 v9, v4
	s_andn2_b64 vcc, exec, s[52:53]
	s_mov_b64 s[80:81], s[70:71]
	s_mov_b64 s[82:83], s[20:21]
	v_mov_b32_e32 v8, v3
	s_mov_b32 s18, s91
	s_cbranch_vccnz .LBB0_58
.LBB0_60:                               ;   Parent Loop BB0_4 Depth=1
                                        ;     Parent Loop BB0_59 Depth=2
                                        ; =>    This Inner Loop Header: Depth=3
	v_mov_b32_e32 v12, s65
	v_add_co_u32_e32 v11, vcc, s64, v8
	global_load_dword v13, v34, s[80:81]
	v_addc_co_u32_e32 v12, vcc, v9, v12, vcc
	global_load_dword v14, v[11:12], off
	global_load_dword v15, v34, s[82:83]
	s_add_i32 s18, s18, -1
	s_add_u32 s82, s82, 4
	s_addc_u32 s83, s83, 0
	s_add_u32 s80, s80, 4
	s_addc_u32 s81, s81, 0
	s_cmp_eq_u32 s18, 0
	s_waitcnt vmcnt(2)
	v_mul_f32_e32 v35, v10, v13
	s_waitcnt vmcnt(1)
	v_mul_f32_e32 v13, v13, v14
	s_waitcnt vmcnt(0)
	v_fmac_f32_e32 v13, v10, v15
	global_store_dword v[8:9], v13, off
	v_mov_b32_e32 v8, v11
	v_fma_f32 v10, v15, v14, -v35
	v_mov_b32_e32 v9, v12
	s_cbranch_scc0 .LBB0_60
	s_branch .LBB0_58
.LBB0_61:                               ;   in Loop: Header=BB0_4 Depth=1
	s_or_b64 exec, exec, s[76:77]
.LBB0_62:                               ;   in Loop: Header=BB0_4 Depth=1
	s_mov_b64 s[76:77], 0
.LBB0_63:                               ;   in Loop: Header=BB0_4 Depth=1
	s_andn2_b64 vcc, exec, s[76:77]
	s_cbranch_vccnz .LBB0_70
; %bb.64:                               ;   in Loop: Header=BB0_4 Depth=1
	s_and_saveexec_b64 s[76:77], s[2:3]
	s_cbranch_execz .LBB0_69
; %bb.65:                               ;   in Loop: Header=BB0_4 Depth=1
	s_lshl_b64 s[40:41], s[54:55], 2
	v_mov_b32_e32 v4, s43
	v_add_co_u32_e32 v3, vcc, s42, v24
	s_add_u32 s40, s45, s40
	v_addc_co_u32_e32 v4, vcc, v25, v4, vcc
	s_addc_u32 s41, s51, s41
	s_mov_b64 s[78:79], 0
	v_mov_b32_e32 v9, v0
	s_branch .LBB0_67
.LBB0_66:                               ;   in Loop: Header=BB0_67 Depth=2
	v_add_u32_e32 v9, s58, v9
	v_cmp_le_i32_e32 vcc, s90, v9
	s_waitcnt vmcnt(0)
	global_store_dword v[5:6], v10, off offset:-4
	v_mov_b32_e32 v5, s69
	s_or_b64 s[78:79], vcc, s[78:79]
	v_add_co_u32_e32 v3, vcc, s68, v3
	v_addc_co_u32_e32 v4, vcc, v4, v5, vcc
	s_andn2_b64 exec, exec, s[78:79]
	s_cbranch_execz .LBB0_69
.LBB0_67:                               ;   Parent Loop BB0_4 Depth=1
                                        ; =>  This Loop Header: Depth=2
                                        ;       Child Loop BB0_68 Depth 3
	v_mad_i64_i32 v[5:6], s[80:81], v9, s24, 0
	v_mov_b32_e32 v7, s41
	s_mov_b64 s[80:81], s[74:75]
	v_lshlrev_b64 v[5:6], 2, v[5:6]
	s_mov_b64 s[82:83], s[72:73]
	v_add_co_u32_e32 v5, vcc, s40, v5
	v_addc_co_u32_e32 v6, vcc, v7, v6, vcc
	global_load_dword v10, v[5:6], off offset:-4
	v_mov_b32_e32 v8, v4
	s_andn2_b64 vcc, exec, s[56:57]
	v_mov_b32_e32 v7, v3
	s_mov_b32 s18, s50
	s_cbranch_vccnz .LBB0_66
.LBB0_68:                               ;   Parent Loop BB0_4 Depth=1
                                        ;     Parent Loop BB0_67 Depth=2
                                        ; =>    This Inner Loop Header: Depth=3
	global_load_dword v11, v[7:8], off
	global_load_dword v12, v34, s[82:83]
	global_load_dword v13, v34, s[80:81]
	s_add_i32 s18, s18, -1
	s_add_u32 s82, s82, -4
	s_addc_u32 s83, s83, -1
	s_add_u32 s80, s80, -4
	s_addc_u32 s81, s81, -1
	s_cmp_eq_u32 s18, 0
	s_waitcnt vmcnt(1)
	v_mul_f32_e32 v14, v12, v11
	s_waitcnt vmcnt(0)
	v_fmac_f32_e32 v14, v10, v13
	v_mul_f32_e32 v11, v13, v11
	global_store_dword v[7:8], v14, off
	v_add_co_u32_e32 v7, vcc, -4, v7
	v_fma_f32 v10, v10, v12, -v11
	v_addc_co_u32_e32 v8, vcc, -1, v8, vcc
	s_cbranch_scc0 .LBB0_68
	s_branch .LBB0_66
.LBB0_69:                               ;   in Loop: Header=BB0_4 Depth=1
	s_or_b64 exec, exec, s[76:77]
.LBB0_70:                               ;   in Loop: Header=BB0_4 Depth=1
	s_mov_b64 s[76:77], 0
.LBB0_71:                               ;   in Loop: Header=BB0_4 Depth=1
	s_andn2_b64 vcc, exec, s[76:77]
	s_cbranch_vccnz .LBB0_78
; %bb.72:                               ;   in Loop: Header=BB0_4 Depth=1
	s_and_saveexec_b64 s[76:77], s[2:3]
	s_cbranch_execz .LBB0_77
; %bb.73:                               ;   in Loop: Header=BB0_4 Depth=1
	s_lshl_b64 s[40:41], s[54:55], 2
	v_mov_b32_e32 v4, s43
	v_add_co_u32_e32 v3, vcc, s42, v26
	s_add_u32 s40, s45, s40
	v_addc_co_u32_e32 v4, vcc, v27, v4, vcc
	s_addc_u32 s41, s51, s41
	s_mov_b64 s[78:79], 0
	v_mov_b32_e32 v9, v0
	s_branch .LBB0_75
.LBB0_74:                               ;   in Loop: Header=BB0_75 Depth=2
	v_add_u32_e32 v9, s58, v9
	v_cmp_le_i32_e32 vcc, s90, v9
	s_waitcnt vmcnt(0)
	global_store_dword v[5:6], v10, off offset:-4
	v_mov_b32_e32 v5, s69
	s_or_b64 s[78:79], vcc, s[78:79]
	v_add_co_u32_e32 v3, vcc, s68, v3
	v_addc_co_u32_e32 v4, vcc, v4, v5, vcc
	s_andn2_b64 exec, exec, s[78:79]
	s_cbranch_execz .LBB0_77
.LBB0_75:                               ;   Parent Loop BB0_4 Depth=1
                                        ; =>  This Loop Header: Depth=2
                                        ;       Child Loop BB0_76 Depth 3
	v_mad_i64_i32 v[5:6], s[80:81], v9, s24, 0
	v_mov_b32_e32 v7, s41
	s_mov_b64 s[80:81], s[70:71]
	v_lshlrev_b64 v[5:6], 2, v[5:6]
	s_mov_b64 s[82:83], s[20:21]
	v_add_co_u32_e32 v5, vcc, s40, v5
	v_addc_co_u32_e32 v6, vcc, v7, v6, vcc
	global_load_dword v10, v[5:6], off offset:-4
	v_mov_b32_e32 v8, v4
	s_andn2_b64 vcc, exec, s[56:57]
	v_mov_b32_e32 v7, v3
	s_mov_b32 s18, s50
	s_cbranch_vccnz .LBB0_74
.LBB0_76:                               ;   Parent Loop BB0_4 Depth=1
                                        ;     Parent Loop BB0_75 Depth=2
                                        ; =>    This Inner Loop Header: Depth=3
	global_load_dword v11, v[7:8], off
	global_load_dword v12, v34, s[82:83]
	global_load_dword v13, v34, s[80:81]
	s_add_i32 s18, s18, -1
	s_add_u32 s82, s82, 4
	s_addc_u32 s83, s83, 0
	s_add_u32 s80, s80, 4
	s_addc_u32 s81, s81, 0
	s_cmp_eq_u32 s18, 0
	s_waitcnt vmcnt(1)
	v_mul_f32_e32 v14, v12, v11
	s_waitcnt vmcnt(0)
	v_fmac_f32_e32 v14, v10, v13
	v_mul_f32_e32 v11, v13, v11
	global_store_dword v[7:8], v14, off
	v_add_co_u32_e32 v7, vcc, 4, v7
	v_fma_f32 v10, v10, v12, -v11
	v_addc_co_u32_e32 v8, vcc, 0, v8, vcc
	s_cbranch_scc0 .LBB0_76
	s_branch .LBB0_74
.LBB0_77:                               ;   in Loop: Header=BB0_4 Depth=1
	s_or_b64 exec, exec, s[76:77]
.LBB0_78:                               ;   in Loop: Header=BB0_4 Depth=1
	s_mov_b64 s[76:77], 0
.LBB0_79:                               ;   in Loop: Header=BB0_4 Depth=1
	s_andn2_b64 vcc, exec, s[76:77]
	s_cbranch_vccnz .LBB0_86
; %bb.80:                               ;   in Loop: Header=BB0_4 Depth=1
	s_and_saveexec_b64 s[76:77], s[2:3]
	s_cbranch_execz .LBB0_85
; %bb.81:                               ;   in Loop: Header=BB0_4 Depth=1
	v_mov_b32_e32 v4, s43
	v_add_co_u32_e32 v3, vcc, s42, v28
	v_addc_co_u32_e32 v4, vcc, v29, v4, vcc
	s_mov_b64 s[78:79], 0
	v_mov_b32_e32 v9, v0
	s_branch .LBB0_83
.LBB0_82:                               ;   in Loop: Header=BB0_83 Depth=2
	v_add_u32_e32 v9, s58, v9
	v_cmp_le_i32_e32 vcc, s90, v9
	s_waitcnt vmcnt(0)
	global_store_dword v[5:6], v10, off
	v_mov_b32_e32 v5, s69
	s_or_b64 s[78:79], vcc, s[78:79]
	v_add_co_u32_e32 v3, vcc, s68, v3
	v_addc_co_u32_e32 v4, vcc, v4, v5, vcc
	s_andn2_b64 exec, exec, s[78:79]
	s_cbranch_execz .LBB0_85
.LBB0_83:                               ;   Parent Loop BB0_4 Depth=1
                                        ; =>  This Loop Header: Depth=2
                                        ;       Child Loop BB0_84 Depth 3
	v_mad_i64_i32 v[5:6], s[40:41], v9, s24, 0
	v_mov_b32_e32 v7, s51
	s_mov_b64 s[80:81], s[74:75]
	v_lshlrev_b64 v[5:6], 2, v[5:6]
	s_mov_b64 s[82:83], s[72:73]
	v_add_co_u32_e32 v5, vcc, s45, v5
	v_addc_co_u32_e32 v6, vcc, v7, v6, vcc
	global_load_dword v10, v[5:6], off
	v_mov_b32_e32 v8, v4
	s_andn2_b64 vcc, exec, s[56:57]
	v_mov_b32_e32 v7, v3
	s_mov_b32 s18, s44
	s_cbranch_vccnz .LBB0_82
.LBB0_84:                               ;   Parent Loop BB0_4 Depth=1
                                        ;     Parent Loop BB0_83 Depth=2
                                        ; =>    This Inner Loop Header: Depth=3
	global_load_dword v11, v34, s[80:81]
	global_load_dword v12, v[7:8], off
	global_load_dword v13, v34, s[82:83]
	s_add_i32 s18, s18, -1
	s_waitcnt vmcnt(3)
	v_mov_b32_e32 v14, v10
	s_add_u32 s82, s82, -4
	s_addc_u32 s83, s83, -1
	s_add_u32 s80, s80, -4
	s_addc_u32 s81, s81, -1
	s_cmp_lt_u32 s18, 3
	s_waitcnt vmcnt(2)
	v_mul_f32_e32 v15, v14, v11
	s_waitcnt vmcnt(1)
	v_mul_f32_e32 v10, v11, v12
	s_waitcnt vmcnt(0)
	v_fma_f32 v11, v13, v12, -v15
	global_store_dword v[7:8], v11, off
	v_add_co_u32_e32 v7, vcc, -4, v7
	v_fmac_f32_e32 v10, v14, v13
	v_addc_co_u32_e32 v8, vcc, -1, v8, vcc
	s_cbranch_scc0 .LBB0_84
	s_branch .LBB0_82
.LBB0_85:                               ;   in Loop: Header=BB0_4 Depth=1
	s_or_b64 exec, exec, s[76:77]
.LBB0_86:                               ;   in Loop: Header=BB0_4 Depth=1
	s_mov_b64 s[76:77], 0
.LBB0_87:                               ;   in Loop: Header=BB0_4 Depth=1
	s_andn2_b64 vcc, exec, s[76:77]
	s_cbranch_vccnz .LBB0_94
; %bb.88:                               ;   in Loop: Header=BB0_4 Depth=1
	s_and_saveexec_b64 s[76:77], s[2:3]
	s_cbranch_execz .LBB0_93
; %bb.89:                               ;   in Loop: Header=BB0_4 Depth=1
	v_mov_b32_e32 v4, v2
	s_mov_b64 s[78:79], 0
	v_mov_b32_e32 v3, v1
	v_mov_b32_e32 v9, v0
	s_branch .LBB0_91
.LBB0_90:                               ;   in Loop: Header=BB0_91 Depth=2
	v_add_u32_e32 v9, s58, v9
	v_cmp_le_i32_e32 vcc, s90, v9
	s_waitcnt vmcnt(0)
	global_store_dword v[5:6], v10, off
	v_mov_b32_e32 v5, s69
	s_or_b64 s[78:79], vcc, s[78:79]
	v_add_co_u32_e32 v3, vcc, s68, v3
	v_addc_co_u32_e32 v4, vcc, v4, v5, vcc
	s_andn2_b64 exec, exec, s[78:79]
	s_cbranch_execz .LBB0_93
.LBB0_91:                               ;   Parent Loop BB0_4 Depth=1
                                        ; =>  This Loop Header: Depth=2
                                        ;       Child Loop BB0_92 Depth 3
	v_mad_i64_i32 v[5:6], s[40:41], v9, s24, 0
	v_mov_b32_e32 v7, s51
	s_mov_b32 s18, s50
	v_lshlrev_b64 v[5:6], 2, v[5:6]
	s_mov_b64 s[80:81], s[20:21]
	v_add_co_u32_e32 v5, vcc, s45, v5
	v_addc_co_u32_e32 v6, vcc, v7, v6, vcc
	global_load_dword v10, v[5:6], off
	v_mov_b32_e32 v8, v4
	s_andn2_b64 vcc, exec, s[56:57]
	v_mov_b32_e32 v7, v3
	s_mov_b64 s[82:83], s[70:71]
	s_cbranch_vccnz .LBB0_90
.LBB0_92:                               ;   Parent Loop BB0_4 Depth=1
                                        ;     Parent Loop BB0_91 Depth=2
                                        ; =>    This Inner Loop Header: Depth=3
	global_load_dword v11, v34, s[82:83]
	global_load_dword v12, v[7:8], off
	global_load_dword v13, v34, s[80:81]
	s_waitcnt vmcnt(3)
	v_mov_b32_e32 v14, v10
	s_add_u32 s82, s82, 4
	s_addc_u32 s83, s83, 0
	s_add_u32 s80, s80, 4
	s_addc_u32 s81, s81, 0
	s_add_i32 s18, s18, -1
	s_cmp_eq_u32 s18, 0
	s_waitcnt vmcnt(2)
	v_mul_f32_e32 v15, v14, v11
	s_waitcnt vmcnt(1)
	v_mul_f32_e32 v10, v11, v12
	s_waitcnt vmcnt(0)
	v_fma_f32 v11, v13, v12, -v15
	global_store_dword v[7:8], v11, off
	v_add_co_u32_e32 v7, vcc, 4, v7
	v_fmac_f32_e32 v10, v14, v13
	v_addc_co_u32_e32 v8, vcc, 0, v8, vcc
	s_cbranch_scc0 .LBB0_92
	s_branch .LBB0_90
.LBB0_93:                               ;   in Loop: Header=BB0_4 Depth=1
	s_or_b64 exec, exec, s[76:77]
.LBB0_94:                               ;   in Loop: Header=BB0_4 Depth=1
	s_mov_b64 s[76:77], 0
.LBB0_95:                               ;   in Loop: Header=BB0_4 Depth=1
	s_andn2_b64 vcc, exec, s[76:77]
	s_cbranch_vccnz .LBB0_102
; %bb.96:                               ;   in Loop: Header=BB0_4 Depth=1
	s_and_saveexec_b64 s[76:77], s[2:3]
	s_cbranch_execz .LBB0_101
; %bb.97:                               ;   in Loop: Header=BB0_4 Depth=1
	s_lshl_b64 s[40:41], s[54:55], 2
	v_mov_b32_e32 v4, s43
	v_add_co_u32_e32 v3, vcc, s42, v32
	s_add_u32 s40, s45, s40
	v_addc_co_u32_e32 v4, vcc, v33, v4, vcc
	s_addc_u32 s41, s51, s41
	s_mov_b64 s[78:79], 0
	v_mov_b32_e32 v9, v0
	s_branch .LBB0_99
.LBB0_98:                               ;   in Loop: Header=BB0_99 Depth=2
	v_mov_b32_e32 v7, s51
	v_add_co_u32_e32 v5, vcc, s45, v5
	v_addc_co_u32_e32 v6, vcc, v7, v6, vcc
	v_add_u32_e32 v9, s58, v9
	v_cmp_le_i32_e32 vcc, s90, v9
	s_waitcnt vmcnt(0)
	global_store_dword v[5:6], v10, off
	v_mov_b32_e32 v5, s69
	s_or_b64 s[78:79], vcc, s[78:79]
	v_add_co_u32_e32 v3, vcc, s68, v3
	v_addc_co_u32_e32 v4, vcc, v4, v5, vcc
	s_andn2_b64 exec, exec, s[78:79]
	s_cbranch_execz .LBB0_101
.LBB0_99:                               ;   Parent Loop BB0_4 Depth=1
                                        ; =>  This Loop Header: Depth=2
                                        ;       Child Loop BB0_100 Depth 3
	v_mad_i64_i32 v[5:6], s[42:43], v9, s24, 0
	v_mov_b32_e32 v8, s41
	s_mov_b64 s[80:81], s[74:75]
	v_lshlrev_b64 v[5:6], 2, v[5:6]
	s_mov_b64 s[82:83], s[72:73]
	v_add_co_u32_e32 v7, vcc, s40, v5
	v_addc_co_u32_e32 v8, vcc, v8, v6, vcc
	global_load_dword v10, v[7:8], off offset:-4
	v_mov_b32_e32 v8, v4
	s_andn2_b64 vcc, exec, s[56:57]
	v_mov_b32_e32 v7, v3
	s_mov_b32 s18, s50
	s_cbranch_vccnz .LBB0_98
.LBB0_100:                              ;   Parent Loop BB0_4 Depth=1
                                        ;     Parent Loop BB0_99 Depth=2
                                        ; =>    This Inner Loop Header: Depth=3
	global_load_dword v13, v[7:8], off offset:-4
	global_load_dword v14, v34, s[80:81]
	global_load_dword v15, v34, s[82:83]
	s_add_i32 s18, s18, -1
	s_add_u32 s82, s82, -4
	s_waitcnt vmcnt(3)
	v_mov_b32_e32 v35, v10
	s_addc_u32 s83, s83, -1
	v_add_co_u32_e32 v11, vcc, -4, v7
	s_add_u32 s80, s80, -4
	v_addc_co_u32_e32 v12, vcc, -1, v8, vcc
	s_addc_u32 s81, s81, -1
	s_cmp_eq_u32 s18, 0
	s_waitcnt vmcnt(1)
	v_mul_f32_e32 v36, v14, v13
	s_waitcnt vmcnt(0)
	v_mul_f32_e32 v10, v15, v13
	v_fma_f32 v13, v35, v15, -v36
	global_store_dword v[7:8], v13, off
	v_mov_b32_e32 v7, v11
	v_fmac_f32_e32 v10, v35, v14
	v_mov_b32_e32 v8, v12
	s_cbranch_scc0 .LBB0_100
	s_branch .LBB0_98
.LBB0_101:                              ;   in Loop: Header=BB0_4 Depth=1
	s_or_b64 exec, exec, s[76:77]
.LBB0_102:                              ;   in Loop: Header=BB0_4 Depth=1
	s_cbranch_execnz .LBB0_3
.LBB0_103:                              ;   in Loop: Header=BB0_4 Depth=1
	s_and_saveexec_b64 s[72:73], s[2:3]
	s_cbranch_execz .LBB0_2
; %bb.104:                              ;   in Loop: Header=BB0_4 Depth=1
	s_lshl_b64 s[40:41], s[54:55], 2
	s_add_u32 s40, s45, s40
	s_addc_u32 s41, s51, s41
	s_mov_b64 s[74:75], 0
	v_mov_b32_e32 v7, v0
	s_branch .LBB0_106
.LBB0_105:                              ;   in Loop: Header=BB0_106 Depth=2
	v_mov_b32_e32 v5, s41
	v_add_co_u32_e32 v3, vcc, s40, v3
	v_addc_co_u32_e32 v4, vcc, v5, v4, vcc
	v_add_u32_e32 v7, s58, v7
	v_cmp_le_i32_e32 vcc, s90, v7
	s_waitcnt vmcnt(0)
	global_store_dword v[3:4], v8, off offset:-4
	v_mov_b32_e32 v3, s69
	s_or_b64 s[74:75], vcc, s[74:75]
	v_add_co_u32_e32 v1, vcc, s68, v1
	v_addc_co_u32_e32 v2, vcc, v2, v3, vcc
	s_andn2_b64 exec, exec, s[74:75]
	s_cbranch_execz .LBB0_2
.LBB0_106:                              ;   Parent Loop BB0_4 Depth=1
                                        ; =>  This Loop Header: Depth=2
                                        ;       Child Loop BB0_107 Depth 3
	v_mad_i64_i32 v[3:4], s[42:43], v7, s24, 0
	v_mov_b32_e32 v6, s51
	s_mov_b64 s[76:77], s[70:71]
	v_lshlrev_b64 v[3:4], 2, v[3:4]
	s_mov_b64 s[78:79], s[20:21]
	v_add_co_u32_e32 v5, vcc, s45, v3
	v_addc_co_u32_e32 v6, vcc, v6, v4, vcc
	global_load_dword v8, v[5:6], off
	v_mov_b32_e32 v6, v2
	s_andn2_b64 vcc, exec, s[56:57]
	v_mov_b32_e32 v5, v1
	s_mov_b32 s42, s50
	s_cbranch_vccnz .LBB0_105
.LBB0_107:                              ;   Parent Loop BB0_4 Depth=1
                                        ;     Parent Loop BB0_106 Depth=2
                                        ; =>    This Inner Loop Header: Depth=3
	global_load_dword v9, v34, s[78:79]
	global_load_dword v10, v34, s[76:77]
	global_load_dword v11, v[5:6], off
	s_add_i32 s42, s42, -1
	s_add_u32 s78, s78, 4
	s_addc_u32 s79, s79, 0
	s_add_u32 s76, s76, 4
	s_addc_u32 s77, s77, 0
	s_cmp_eq_u32 s42, 0
	s_waitcnt vmcnt(0)
	v_mul_f32_e32 v12, v10, v11
	v_fmac_f32_e32 v12, v8, v9
	global_store_dword v[5:6], v12, off offset:-4
	v_mul_f32_e32 v8, v8, v10
	v_add_co_u32_e32 v5, vcc, 4, v5
	v_fma_f32 v8, v9, v11, -v8
	v_addc_co_u32_e32 v6, vcc, 0, v6, vcc
	s_cbranch_scc0 .LBB0_107
	s_branch .LBB0_105
.LBB0_108:
	s_endpgm
	.section	.rodata,"a",@progbits
	.p2align	6, 0x0
	.amdhsa_kernel _ZN9rocsolver6v33100L11lasr_kernelIffPfiEEv13rocblas_side_14rocblas_pivot_15rocblas_direct_T2_S6_PT0_lS8_lT1_lS6_lS6_
		.amdhsa_group_segment_fixed_size 0
		.amdhsa_private_segment_fixed_size 0
		.amdhsa_kernarg_size 352
		.amdhsa_user_sgpr_count 6
		.amdhsa_user_sgpr_private_segment_buffer 1
		.amdhsa_user_sgpr_dispatch_ptr 0
		.amdhsa_user_sgpr_queue_ptr 0
		.amdhsa_user_sgpr_kernarg_segment_ptr 1
		.amdhsa_user_sgpr_dispatch_id 0
		.amdhsa_user_sgpr_flat_scratch_init 0
		.amdhsa_user_sgpr_private_segment_size 0
		.amdhsa_uses_dynamic_stack 0
		.amdhsa_system_sgpr_private_segment_wavefront_offset 0
		.amdhsa_system_sgpr_workgroup_id_x 1
		.amdhsa_system_sgpr_workgroup_id_y 0
		.amdhsa_system_sgpr_workgroup_id_z 1
		.amdhsa_system_sgpr_workgroup_info 0
		.amdhsa_system_vgpr_workitem_id 0
		.amdhsa_next_free_vgpr 43
		.amdhsa_next_free_sgpr 96
		.amdhsa_reserve_vcc 1
		.amdhsa_reserve_flat_scratch 0
		.amdhsa_float_round_mode_32 0
		.amdhsa_float_round_mode_16_64 0
		.amdhsa_float_denorm_mode_32 3
		.amdhsa_float_denorm_mode_16_64 3
		.amdhsa_dx10_clamp 1
		.amdhsa_ieee_mode 1
		.amdhsa_fp16_overflow 0
		.amdhsa_exception_fp_ieee_invalid_op 0
		.amdhsa_exception_fp_denorm_src 0
		.amdhsa_exception_fp_ieee_div_zero 0
		.amdhsa_exception_fp_ieee_overflow 0
		.amdhsa_exception_fp_ieee_underflow 0
		.amdhsa_exception_fp_ieee_inexact 0
		.amdhsa_exception_int_div_zero 0
	.end_amdhsa_kernel
	.section	.text._ZN9rocsolver6v33100L11lasr_kernelIffPfiEEv13rocblas_side_14rocblas_pivot_15rocblas_direct_T2_S6_PT0_lS8_lT1_lS6_lS6_,"axG",@progbits,_ZN9rocsolver6v33100L11lasr_kernelIffPfiEEv13rocblas_side_14rocblas_pivot_15rocblas_direct_T2_S6_PT0_lS8_lT1_lS6_lS6_,comdat
.Lfunc_end0:
	.size	_ZN9rocsolver6v33100L11lasr_kernelIffPfiEEv13rocblas_side_14rocblas_pivot_15rocblas_direct_T2_S6_PT0_lS8_lT1_lS6_lS6_, .Lfunc_end0-_ZN9rocsolver6v33100L11lasr_kernelIffPfiEEv13rocblas_side_14rocblas_pivot_15rocblas_direct_T2_S6_PT0_lS8_lT1_lS6_lS6_
                                        ; -- End function
	.set _ZN9rocsolver6v33100L11lasr_kernelIffPfiEEv13rocblas_side_14rocblas_pivot_15rocblas_direct_T2_S6_PT0_lS8_lT1_lS6_lS6_.num_vgpr, 43
	.set _ZN9rocsolver6v33100L11lasr_kernelIffPfiEEv13rocblas_side_14rocblas_pivot_15rocblas_direct_T2_S6_PT0_lS8_lT1_lS6_lS6_.num_agpr, 0
	.set _ZN9rocsolver6v33100L11lasr_kernelIffPfiEEv13rocblas_side_14rocblas_pivot_15rocblas_direct_T2_S6_PT0_lS8_lT1_lS6_lS6_.numbered_sgpr, 96
	.set _ZN9rocsolver6v33100L11lasr_kernelIffPfiEEv13rocblas_side_14rocblas_pivot_15rocblas_direct_T2_S6_PT0_lS8_lT1_lS6_lS6_.num_named_barrier, 0
	.set _ZN9rocsolver6v33100L11lasr_kernelIffPfiEEv13rocblas_side_14rocblas_pivot_15rocblas_direct_T2_S6_PT0_lS8_lT1_lS6_lS6_.private_seg_size, 0
	.set _ZN9rocsolver6v33100L11lasr_kernelIffPfiEEv13rocblas_side_14rocblas_pivot_15rocblas_direct_T2_S6_PT0_lS8_lT1_lS6_lS6_.uses_vcc, 1
	.set _ZN9rocsolver6v33100L11lasr_kernelIffPfiEEv13rocblas_side_14rocblas_pivot_15rocblas_direct_T2_S6_PT0_lS8_lT1_lS6_lS6_.uses_flat_scratch, 0
	.set _ZN9rocsolver6v33100L11lasr_kernelIffPfiEEv13rocblas_side_14rocblas_pivot_15rocblas_direct_T2_S6_PT0_lS8_lT1_lS6_lS6_.has_dyn_sized_stack, 0
	.set _ZN9rocsolver6v33100L11lasr_kernelIffPfiEEv13rocblas_side_14rocblas_pivot_15rocblas_direct_T2_S6_PT0_lS8_lT1_lS6_lS6_.has_recursion, 0
	.set _ZN9rocsolver6v33100L11lasr_kernelIffPfiEEv13rocblas_side_14rocblas_pivot_15rocblas_direct_T2_S6_PT0_lS8_lT1_lS6_lS6_.has_indirect_call, 0
	.section	.AMDGPU.csdata,"",@progbits
; Kernel info:
; codeLenInByte = 4456
; TotalNumSgprs: 100
; NumVgprs: 43
; ScratchSize: 0
; MemoryBound: 0
; FloatMode: 240
; IeeeMode: 1
; LDSByteSize: 0 bytes/workgroup (compile time only)
; SGPRBlocks: 12
; VGPRBlocks: 10
; NumSGPRsForWavesPerEU: 100
; NumVGPRsForWavesPerEU: 43
; Occupancy: 5
; WaveLimiterHint : 0
; COMPUTE_PGM_RSRC2:SCRATCH_EN: 0
; COMPUTE_PGM_RSRC2:USER_SGPR: 6
; COMPUTE_PGM_RSRC2:TRAP_HANDLER: 0
; COMPUTE_PGM_RSRC2:TGID_X_EN: 1
; COMPUTE_PGM_RSRC2:TGID_Y_EN: 0
; COMPUTE_PGM_RSRC2:TGID_Z_EN: 1
; COMPUTE_PGM_RSRC2:TIDIG_COMP_CNT: 0
	.section	.text._ZN9rocsolver6v33100L11lasr_kernelIddPdiEEv13rocblas_side_14rocblas_pivot_15rocblas_direct_T2_S6_PT0_lS8_lT1_lS6_lS6_,"axG",@progbits,_ZN9rocsolver6v33100L11lasr_kernelIddPdiEEv13rocblas_side_14rocblas_pivot_15rocblas_direct_T2_S6_PT0_lS8_lT1_lS6_lS6_,comdat
	.globl	_ZN9rocsolver6v33100L11lasr_kernelIddPdiEEv13rocblas_side_14rocblas_pivot_15rocblas_direct_T2_S6_PT0_lS8_lT1_lS6_lS6_ ; -- Begin function _ZN9rocsolver6v33100L11lasr_kernelIddPdiEEv13rocblas_side_14rocblas_pivot_15rocblas_direct_T2_S6_PT0_lS8_lT1_lS6_lS6_
	.p2align	8
	.type	_ZN9rocsolver6v33100L11lasr_kernelIddPdiEEv13rocblas_side_14rocblas_pivot_15rocblas_direct_T2_S6_PT0_lS8_lT1_lS6_lS6_,@function
_ZN9rocsolver6v33100L11lasr_kernelIddPdiEEv13rocblas_side_14rocblas_pivot_15rocblas_direct_T2_S6_PT0_lS8_lT1_lS6_lS6_: ; @_ZN9rocsolver6v33100L11lasr_kernelIddPdiEEv13rocblas_side_14rocblas_pivot_15rocblas_direct_T2_S6_PT0_lS8_lT1_lS6_lS6_
; %bb.0:
	s_load_dword s33, s[4:5], 0x58
	s_waitcnt lgkmcnt(0)
	s_cmp_ge_u32 s7, s33
	s_cbranch_scc1 .LBB1_108
; %bb.1:
	s_load_dword s24, s[4:5], 0x48
	s_load_dwordx2 s[26:27], s[4:5], 0x68
	s_load_dwordx4 s[20:23], s[4:5], 0x38
	s_load_dwordx4 s[16:19], s[4:5], 0x0
	s_load_dword s90, s[4:5], 0x10
	s_waitcnt lgkmcnt(0)
	s_ashr_i32 s25, s24, 31
	s_and_b32 s45, s27, 0xffff
	s_mul_i32 s6, s6, s45
	s_lshl_b64 s[2:3], s[22:23], 3
	v_add_u32_e32 v0, s6, v0
	s_add_u32 s6, s20, s2
	s_addc_u32 s27, s21, s3
	s_cmpk_eq_i32 s16, 0x8d
	s_cselect_b64 s[0:1], -1, 0
	s_cmpk_eq_i32 s16, 0x8e
	s_cselect_b64 s[8:9], -1, 0
	;; [unrolled: 2-line block ×7, first 2 shown]
	s_and_b64 s[22:23], s[0:1], s[10:11]
	s_and_b64 s[30:31], s[0:1], s[14:15]
	;; [unrolled: 1-line block ×5, first 2 shown]
	s_xor_b64 s[36:37], s[0:1], -1
	s_and_b64 s[0:1], s[8:9], s[10:11]
	s_and_b64 s[10:11], s[0:1], s[40:41]
	;; [unrolled: 1-line block ×3, first 2 shown]
	s_xor_b64 s[0:1], s[0:1], -1
                                        ; implicit-def: $vgpr45 : SGPR spill to VGPR lane
	s_xor_b64 s[38:39], s[10:11], -1
	v_writelane_b32 v45, s0, 0
	v_writelane_b32 v45, s1, 1
	s_and_b64 s[0:1], s[8:9], s[14:15]
	s_and_b64 s[10:11], s[0:1], s[40:41]
	s_xor_b64 s[10:11], s[10:11], -1
	v_writelane_b32 v45, s10, 2
	s_and_b64 s[0:1], s[0:1], s[42:43]
	v_writelane_b32 v45, s11, 3
	s_xor_b64 s[0:1], s[0:1], -1
	v_writelane_b32 v45, s0, 4
	s_and_b64 s[8:9], s[8:9], s[12:13]
	v_writelane_b32 v45, s1, 5
	s_and_b64 s[0:1], s[8:9], s[40:41]
	s_xor_b64 s[0:1], s[0:1], -1
	v_writelane_b32 v45, s0, 6
	v_writelane_b32 v45, s1, 7
	v_cmp_gt_i32_e64 s[0:1], s19, v0
	s_and_b64 s[10:11], s[42:43], s[0:1]
	s_and_b64 s[8:9], s[8:9], s[10:11]
	;; [unrolled: 1-line block ×6, first 2 shown]
	v_writelane_b32 v45, s8, 8
	s_xor_b64 s[16:17], s[16:17], -1
	s_xor_b64 s[22:23], s[22:23], -1
	;; [unrolled: 1-line block ×5, first 2 shown]
	v_writelane_b32 v45, s9, 9
	s_add_i32 s91, s90, -1
	s_add_i32 s50, s90, -2
	s_load_dwordx8 s[8:15], s[4:5], 0x18
	s_cmp_gt_i32 s90, 1
	s_cselect_b64 s[52:53], -1, 0
	s_ashr_i32 s55, s19, 31
	s_add_i32 s40, s19, -2
	s_cmp_gt_i32 s19, 1
	s_mov_b32 s51, 0
	s_cselect_b64 s[56:57], -1, 0
	s_lshl_b64 s[42:43], s[50:51], 3
	s_waitcnt lgkmcnt(0)
	s_add_u32 s18, s8, s42
	s_addc_u32 s92, s9, s43
	s_lshl_b64 s[10:11], s[10:11], 3
	s_load_dword s44, s[4:5], 0x60
	v_writelane_b32 v45, s18, 10
	s_add_u32 s93, s12, s42
	s_mul_i32 s18, s25, s50
	s_mul_hi_u32 s41, s24, s50
	s_addc_u32 s94, s13, s43
	s_add_i32 s43, s41, s18
	s_mul_i32 s42, s24, s50
	s_lshl_b64 s[42:43], s[42:43], 3
	s_lshl_b64 s[14:15], s[14:15], 3
	s_load_dwordx2 s[4:5], s[4:5], 0x50
	s_add_u32 s18, s42, s2
	s_addc_u32 s41, s43, s3
	s_add_u32 s18, s20, s18
	v_ashrrev_i32_e32 v1, 31, v0
	s_waitcnt lgkmcnt(0)
	s_mul_i32 s58, s44, s45
	s_addc_u32 s41, s21, s41
	v_lshlrev_b64 v[1:2], 3, v[0:1]
	s_ashr_i32 s59, s58, 31
	s_lshl_b64 s[60:61], s[4:5], 3
	s_lshl_b64 s[62:63], s[58:59], 3
	;; [unrolled: 1-line block ×3, first 2 shown]
	v_add_co_u32_e32 v18, vcc, s18, v1
	s_sub_u32 s59, 0, s64
	s_mul_i32 s18, s25, s91
	s_mul_hi_u32 s25, s24, s91
	s_mul_i32 s66, s24, s91
	s_subb_u32 s95, 0, s65
	s_add_i32 s43, s25, s18
	s_mov_b32 s42, s66
	s_lshl_b64 s[42:43], s[42:43], 3
	s_add_i32 s25, s90, 1
	v_mov_b32_e32 v3, s41
	s_add_u32 s18, s42, s2
	v_addc_co_u32_e32 v19, vcc, v3, v2, vcc
	s_addc_u32 s41, s43, s3
	v_mov_b32_e32 v3, s27
	v_add_co_u32_e32 v20, vcc, s6, v1
	s_add_u32 s18, s20, s18
	v_addc_co_u32_e32 v21, vcc, v3, v2, vcc
	s_addc_u32 s41, s21, s41
	v_mov_b32_e32 v3, s41
	v_add_co_u32_e32 v22, vcc, s18, v1
	s_add_u32 s18, s2, s64
	v_addc_co_u32_e32 v23, vcc, v3, v2, vcc
	s_addc_u32 s41, s3, s65
	v_mad_i64_i32 v[3:4], s[42:43], s24, v0, 0
	s_add_u32 s18, s20, s18
	s_addc_u32 s41, s21, s41
	v_mov_b32_e32 v5, s41
	v_add_co_u32_e32 v24, vcc, s18, v1
	v_addc_co_u32_e32 v25, vcc, v5, v2, vcc
	v_lshlrev_b64 v[1:2], 3, v[3:4]
	s_mov_b32 s41, s51
	v_mov_b32_e32 v3, s3
	v_add_co_u32_e32 v1, vcc, s2, v1
	s_add_i32 s50, s19, -1
	s_lshl_b64 s[2:3], s[40:41], 3
	s_add_u32 s48, s8, s2
	s_addc_u32 s49, s9, s3
	s_add_u32 s46, s12, s2
	s_addc_u32 s47, s13, s3
	s_add_u32 s2, s20, s2
	v_addc_co_u32_e32 v2, vcc, v2, v3, vcc
	s_addc_u32 s3, s21, s3
	v_mov_b32_e32 v3, s3
	v_add_co_u32_e32 v26, vcc, s2, v1
	s_mul_hi_i32 s3, s24, s58
	s_mul_i32 s2, s24, s58
	v_addc_co_u32_e32 v27, vcc, v3, v2, vcc
	s_lshl_b64 s[68:69], s[2:3], 3
	s_add_i32 s44, s19, 1
	s_lshl_b64 s[2:3], s[50:51], 3
	s_add_u32 s2, s20, s2
	v_mov_b32_e32 v3, s21
	v_add_co_u32_e32 v28, vcc, s20, v1
	s_addc_u32 s3, s21, s3
	v_addc_co_u32_e32 v29, vcc, v3, v2, vcc
	v_mov_b32_e32 v3, s3
	v_add_co_u32_e32 v30, vcc, s2, v1
	v_addc_co_u32_e32 v31, vcc, v3, v2, vcc
	v_add_co_u32_e32 v32, vcc, 8, v28
	v_addc_co_u32_e32 v33, vcc, 0, v29, vcc
	;; [unrolled: 2-line block ×3, first 2 shown]
	s_mul_hi_i32 s67, s24, s91
	s_mov_b32 s54, s19
	v_mov_b32_e32 v36, 0
	v_cmp_gt_i32_e64 s[2:3], s90, v0
	s_branch .LBB1_4
.LBB1_2:                                ;   in Loop: Header=BB1_4 Depth=1
	s_or_b64 exec, exec, s[72:73]
.LBB1_3:                                ;   in Loop: Header=BB1_4 Depth=1
	s_add_i32 s7, s7, s26
	s_cmp_ge_u32 s7, s33
	s_cbranch_scc1 .LBB1_108
.LBB1_4:                                ; =>This Loop Header: Depth=1
                                        ;     Child Loop BB1_19 Depth 2
                                        ;       Child Loop BB1_20 Depth 3
                                        ;     Child Loop BB1_26 Depth 2
                                        ;       Child Loop BB1_27 Depth 3
	;; [unrolled: 2-line block ×12, first 2 shown]
	s_mul_i32 s18, s61, s7
	s_mul_hi_u32 s20, s60, s7
	s_add_i32 s43, s20, s18
	s_mul_i32 s18, s11, s7
	s_mul_hi_u32 s20, s10, s7
	s_add_i32 s40, s20, s18
	s_mul_i32 s41, s10, s7
	s_add_u32 s20, s8, s41
	s_mul_i32 s18, s15, s7
	s_mul_hi_u32 s45, s14, s7
	s_addc_u32 s21, s9, s40
	s_add_i32 s79, s45, s18
	s_mul_i32 s78, s14, s7
	s_add_u32 s70, s12, s78
	s_mul_i32 s18, s5, s7
	s_mul_hi_u32 s45, s4, s7
	s_mul_i32 s42, s60, s7
	s_addc_u32 s71, s13, s79
	s_add_i32 s73, s45, s18
	s_mul_i32 s72, s4, s7
	v_mov_b32_e32 v2, s43
	v_add_co_u32_e32 v1, vcc, s42, v32
	s_lshl_b64 s[72:73], s[72:73], 3
	v_addc_co_u32_e32 v2, vcc, v33, v2, vcc
	s_add_u32 s45, s6, s72
	s_addc_u32 s51, s27, s73
	s_and_b64 vcc, exec, s[16:17]
	s_mov_b64 s[72:73], -1
	s_cbranch_vccnz .LBB1_6
; %bb.5:                                ;   in Loop: Header=BB1_4 Depth=1
	s_andn2_b64 vcc, exec, s[72:73]
	s_cbranch_vccnz .LBB1_3
	s_branch .LBB1_103
.LBB1_6:                                ;   in Loop: Header=BB1_4 Depth=1
	s_add_u32 s72, s48, s41
	s_addc_u32 s73, s49, s40
	s_add_u32 s74, s46, s78
	s_addc_u32 s75, s47, s79
	s_mov_b64 s[76:77], -1
	s_and_b64 vcc, exec, s[22:23]
	s_cbranch_vccz .LBB1_95
; %bb.7:                                ;   in Loop: Header=BB1_4 Depth=1
	s_and_b64 vcc, exec, s[28:29]
	s_cbranch_vccz .LBB1_87
; %bb.8:                                ;   in Loop: Header=BB1_4 Depth=1
	;; [unrolled: 3-line block ×3, first 2 shown]
	s_and_b64 vcc, exec, s[34:35]
	s_cbranch_vccz .LBB1_71
; %bb.10:                               ;   in Loop: Header=BB1_4 Depth=1
	s_and_b64 vcc, exec, s[36:37]
	s_cbranch_vccz .LBB1_63
; %bb.11:                               ;   in Loop: Header=BB1_4 Depth=1
	v_mov_b32_e32 v4, s43
	v_add_co_u32_e32 v3, vcc, s42, v20
	v_addc_co_u32_e32 v4, vcc, v21, v4, vcc
	s_and_b64 vcc, exec, s[38:39]
	s_cbranch_vccz .LBB1_55
; %bb.12:                               ;   in Loop: Header=BB1_4 Depth=1
	v_mov_b32_e32 v6, s43
	v_add_co_u32_e32 v5, vcc, s42, v22
	v_readlane_b32 s18, v45, 10
	v_addc_co_u32_e32 v6, vcc, v23, v6, vcc
	s_add_u32 s76, s18, s41
	s_addc_u32 s77, s92, s40
	v_mov_b32_e32 v8, s43
	v_add_co_u32_e32 v7, vcc, s42, v18
	v_readlane_b32 s40, v45, 0
	s_add_u32 s78, s93, s78
	v_addc_co_u32_e32 v8, vcc, v19, v8, vcc
	v_readlane_b32 s41, v45, 1
	s_addc_u32 s79, s94, s79
	s_mov_b64 s[80:81], -1
	s_and_b64 vcc, exec, s[40:41]
	s_cbranch_vccz .LBB1_46
; %bb.13:                               ;   in Loop: Header=BB1_4 Depth=1
	v_readlane_b32 s40, v45, 2
	v_readlane_b32 s41, v45, 3
	s_and_b64 vcc, exec, s[40:41]
	s_cbranch_vccz .LBB1_38
; %bb.14:                               ;   in Loop: Header=BB1_4 Depth=1
	v_readlane_b32 s40, v45, 4
	v_readlane_b32 s41, v45, 5
	;; [unrolled: 5-line block ×3, first 2 shown]
	s_and_b64 vcc, exec, s[40:41]
	s_cbranch_vccz .LBB1_22
; %bb.16:                               ;   in Loop: Header=BB1_4 Depth=1
	s_mov_b64 s[80:81], exec
	v_readlane_b32 s40, v45, 8
	v_readlane_b32 s41, v45, 9
	s_and_b64 s[40:41], s[80:81], s[40:41]
	s_mov_b64 exec, s[40:41]
	s_cbranch_execz .LBB1_21
; %bb.17:                               ;   in Loop: Header=BB1_4 Depth=1
	s_lshl_b64 s[40:41], s[66:67], 3
	s_add_u32 s40, s45, s40
	v_mov_b32_e32 v10, v8
	s_addc_u32 s41, s51, s41
	s_mov_b64 s[82:83], 0
	v_mov_b32_e32 v9, v7
	v_mov_b32_e32 v11, v0
	s_branch .LBB1_19
.LBB1_18:                               ;   in Loop: Header=BB1_19 Depth=2
	v_add_u32_e32 v11, s58, v11
	v_cmp_le_i32_e32 vcc, s19, v11
	s_waitcnt vmcnt(0)
	global_store_dwordx2 v[12:13], v[14:15], off
	v_mov_b32_e32 v12, s63
	s_or_b64 s[82:83], vcc, s[82:83]
	v_add_co_u32_e32 v9, vcc, s62, v9
	v_addc_co_u32_e32 v10, vcc, v10, v12, vcc
	s_andn2_b64 exec, exec, s[82:83]
	s_cbranch_execz .LBB1_21
.LBB1_19:                               ;   Parent Loop BB1_4 Depth=1
                                        ; =>  This Loop Header: Depth=2
                                        ;       Child Loop BB1_20 Depth 3
	v_ashrrev_i32_e32 v12, 31, v11
	v_lshlrev_b64 v[12:13], 3, v[11:12]
	v_mov_b32_e32 v14, s41
	v_add_co_u32_e32 v12, vcc, s40, v12
	v_addc_co_u32_e32 v13, vcc, v14, v13, vcc
	global_load_dwordx2 v[14:15], v[12:13], off
	v_mov_b32_e32 v17, v10
	s_andn2_b64 vcc, exec, s[52:53]
	v_mov_b32_e32 v16, v9
	s_mov_b64 s[84:85], s[78:79]
	s_mov_b64 s[86:87], s[76:77]
	s_mov_b32 s18, s91
	s_cbranch_vccnz .LBB1_18
.LBB1_20:                               ;   Parent Loop BB1_4 Depth=1
                                        ;     Parent Loop BB1_19 Depth=2
                                        ; =>    This Inner Loop Header: Depth=3
	global_load_dwordx2 v[37:38], v[16:17], off
	global_load_dwordx2 v[39:40], v36, s[86:87]
	global_load_dwordx2 v[41:42], v36, s[84:85]
	s_add_i32 s18, s18, -1
	s_add_u32 s86, s86, -8
	s_addc_u32 s87, s87, -1
	s_add_u32 s84, s84, -8
	s_addc_u32 s85, s85, -1
	s_cmp_eq_u32 s18, 0
	s_waitcnt vmcnt(1)
	v_mul_f64 v[43:44], v[39:40], v[37:38]
	s_waitcnt vmcnt(0)
	v_mul_f64 v[37:38], v[41:42], v[37:38]
	v_fma_f64 v[41:42], v[14:15], v[41:42], v[43:44]
	v_fma_f64 v[14:15], v[14:15], v[39:40], -v[37:38]
	v_mov_b32_e32 v43, s95
	global_store_dwordx2 v[16:17], v[41:42], off
	v_add_co_u32_e32 v16, vcc, s59, v16
	v_addc_co_u32_e32 v17, vcc, v17, v43, vcc
	s_cbranch_scc0 .LBB1_20
	s_branch .LBB1_18
.LBB1_21:                               ;   in Loop: Header=BB1_4 Depth=1
	s_or_b64 exec, exec, s[80:81]
	s_mov_b64 s[80:81], 0
.LBB1_22:                               ;   in Loop: Header=BB1_4 Depth=1
	s_andn2_b64 vcc, exec, s[80:81]
	s_cbranch_vccnz .LBB1_29
; %bb.23:                               ;   in Loop: Header=BB1_4 Depth=1
	s_and_saveexec_b64 s[80:81], s[0:1]
	s_cbranch_execz .LBB1_28
; %bb.24:                               ;   in Loop: Header=BB1_4 Depth=1
	s_lshl_b64 s[40:41], s[66:67], 3
	s_add_u32 s40, s45, s40
	v_mov_b32_e32 v10, v4
	s_addc_u32 s41, s51, s41
	s_mov_b64 s[82:83], 0
	v_mov_b32_e32 v9, v3
	v_mov_b32_e32 v11, v0
	s_branch .LBB1_26
.LBB1_25:                               ;   in Loop: Header=BB1_26 Depth=2
	v_add_u32_e32 v11, s58, v11
	v_cmp_le_i32_e32 vcc, s19, v11
	s_waitcnt vmcnt(0)
	global_store_dwordx2 v[12:13], v[14:15], off
	v_mov_b32_e32 v12, s63
	s_or_b64 s[82:83], vcc, s[82:83]
	v_add_co_u32_e32 v9, vcc, s62, v9
	v_addc_co_u32_e32 v10, vcc, v10, v12, vcc
	s_andn2_b64 exec, exec, s[82:83]
	s_cbranch_execz .LBB1_28
.LBB1_26:                               ;   Parent Loop BB1_4 Depth=1
                                        ; =>  This Loop Header: Depth=2
                                        ;       Child Loop BB1_27 Depth 3
	v_ashrrev_i32_e32 v12, 31, v11
	v_lshlrev_b64 v[12:13], 3, v[11:12]
	v_mov_b32_e32 v14, s41
	v_add_co_u32_e32 v12, vcc, s40, v12
	v_addc_co_u32_e32 v13, vcc, v14, v13, vcc
	global_load_dwordx2 v[14:15], v[12:13], off
	v_mov_b32_e32 v17, v10
	s_andn2_b64 vcc, exec, s[52:53]
	v_mov_b32_e32 v16, v9
	s_mov_b64 s[84:85], s[70:71]
	s_mov_b64 s[86:87], s[20:21]
	s_mov_b32 s18, s91
	s_cbranch_vccnz .LBB1_25
.LBB1_27:                               ;   Parent Loop BB1_4 Depth=1
                                        ;     Parent Loop BB1_26 Depth=2
                                        ; =>    This Inner Loop Header: Depth=3
	global_load_dwordx2 v[37:38], v[16:17], off
	global_load_dwordx2 v[39:40], v36, s[86:87]
	global_load_dwordx2 v[41:42], v36, s[84:85]
	s_add_i32 s18, s18, -1
	s_add_u32 s86, s86, 8
	s_addc_u32 s87, s87, 0
	s_add_u32 s84, s84, 8
	s_addc_u32 s85, s85, 0
	s_cmp_eq_u32 s18, 0
	s_waitcnt vmcnt(1)
	v_mul_f64 v[43:44], v[39:40], v[37:38]
	s_waitcnt vmcnt(0)
	v_mul_f64 v[37:38], v[41:42], v[37:38]
	v_fma_f64 v[41:42], v[14:15], v[41:42], v[43:44]
	v_fma_f64 v[14:15], v[14:15], v[39:40], -v[37:38]
	v_mov_b32_e32 v43, s65
	global_store_dwordx2 v[16:17], v[41:42], off
	v_add_co_u32_e32 v16, vcc, s64, v16
	v_addc_co_u32_e32 v17, vcc, v17, v43, vcc
	s_cbranch_scc0 .LBB1_27
	s_branch .LBB1_25
.LBB1_28:                               ;   in Loop: Header=BB1_4 Depth=1
	s_or_b64 exec, exec, s[80:81]
.LBB1_29:                               ;   in Loop: Header=BB1_4 Depth=1
	s_mov_b64 s[80:81], 0
.LBB1_30:                               ;   in Loop: Header=BB1_4 Depth=1
	s_andn2_b64 vcc, exec, s[80:81]
	s_cbranch_vccnz .LBB1_37
; %bb.31:                               ;   in Loop: Header=BB1_4 Depth=1
	s_and_saveexec_b64 s[80:81], s[0:1]
	s_cbranch_execz .LBB1_36
; %bb.32:                               ;   in Loop: Header=BB1_4 Depth=1
	v_mov_b32_e32 v10, v6
	s_mov_b64 s[82:83], 0
	v_mov_b32_e32 v9, v5
	v_mov_b32_e32 v11, v0
	s_branch .LBB1_34
.LBB1_33:                               ;   in Loop: Header=BB1_34 Depth=2
	v_add_u32_e32 v11, s58, v11
	v_cmp_le_i32_e32 vcc, s19, v11
	s_waitcnt vmcnt(0)
	global_store_dwordx2 v[12:13], v[14:15], off
	v_mov_b32_e32 v12, s63
	s_or_b64 s[82:83], vcc, s[82:83]
	v_add_co_u32_e32 v9, vcc, s62, v9
	v_addc_co_u32_e32 v10, vcc, v10, v12, vcc
	s_andn2_b64 exec, exec, s[82:83]
	s_cbranch_execz .LBB1_36
.LBB1_34:                               ;   Parent Loop BB1_4 Depth=1
                                        ; =>  This Loop Header: Depth=2
                                        ;       Child Loop BB1_35 Depth 3
	v_ashrrev_i32_e32 v12, 31, v11
	v_lshlrev_b64 v[12:13], 3, v[11:12]
	v_mov_b32_e32 v14, s51
	v_add_co_u32_e32 v12, vcc, s45, v12
	v_addc_co_u32_e32 v13, vcc, v14, v13, vcc
	global_load_dwordx2 v[14:15], v[12:13], off
	v_mov_b32_e32 v17, v10
	s_andn2_b64 vcc, exec, s[52:53]
	v_mov_b32_e32 v16, v9
	s_mov_b64 s[84:85], s[78:79]
	s_mov_b64 s[86:87], s[76:77]
	s_mov_b32 s40, s25
	s_cbranch_vccnz .LBB1_33
.LBB1_35:                               ;   Parent Loop BB1_4 Depth=1
                                        ;     Parent Loop BB1_34 Depth=2
                                        ; =>    This Inner Loop Header: Depth=3
	global_load_dwordx2 v[37:38], v36, s[84:85]
	global_load_dwordx2 v[39:40], v[16:17], off
	global_load_dwordx2 v[41:42], v36, s[86:87]
	s_add_i32 s40, s40, -1
	s_add_u32 s86, s86, -8
	s_addc_u32 s87, s87, -1
	s_add_u32 s84, s84, -8
	s_addc_u32 s85, s85, -1
	s_cmp_lt_u32 s40, 3
	s_waitcnt vmcnt(2)
	v_mul_f64 v[43:44], v[14:15], v[37:38]
	s_waitcnt vmcnt(1)
	v_mul_f64 v[37:38], v[37:38], v[39:40]
	s_waitcnt vmcnt(0)
	v_fma_f64 v[39:40], v[41:42], v[39:40], -v[43:44]
	v_fma_f64 v[14:15], v[14:15], v[41:42], v[37:38]
	v_mov_b32_e32 v43, s95
	global_store_dwordx2 v[16:17], v[39:40], off
	v_add_co_u32_e32 v16, vcc, s59, v16
	v_addc_co_u32_e32 v17, vcc, v17, v43, vcc
	s_cbranch_scc0 .LBB1_35
	s_branch .LBB1_33
.LBB1_36:                               ;   in Loop: Header=BB1_4 Depth=1
	s_or_b64 exec, exec, s[80:81]
.LBB1_37:                               ;   in Loop: Header=BB1_4 Depth=1
	s_mov_b64 s[80:81], 0
.LBB1_38:                               ;   in Loop: Header=BB1_4 Depth=1
	s_andn2_b64 vcc, exec, s[80:81]
	s_cbranch_vccnz .LBB1_45
; %bb.39:                               ;   in Loop: Header=BB1_4 Depth=1
	s_and_saveexec_b64 s[80:81], s[0:1]
	s_cbranch_execz .LBB1_44
; %bb.40:                               ;   in Loop: Header=BB1_4 Depth=1
	v_mov_b32_e32 v10, s43
	v_add_co_u32_e32 v9, vcc, s42, v24
	v_addc_co_u32_e32 v10, vcc, v25, v10, vcc
	s_mov_b64 s[82:83], 0
	v_mov_b32_e32 v11, v0
	s_branch .LBB1_42
.LBB1_41:                               ;   in Loop: Header=BB1_42 Depth=2
	v_add_u32_e32 v11, s58, v11
	v_cmp_le_i32_e32 vcc, s19, v11
	s_waitcnt vmcnt(0)
	global_store_dwordx2 v[12:13], v[14:15], off
	v_mov_b32_e32 v12, s63
	s_or_b64 s[82:83], vcc, s[82:83]
	v_add_co_u32_e32 v9, vcc, s62, v9
	v_addc_co_u32_e32 v10, vcc, v10, v12, vcc
	s_andn2_b64 exec, exec, s[82:83]
	s_cbranch_execz .LBB1_44
.LBB1_42:                               ;   Parent Loop BB1_4 Depth=1
                                        ; =>  This Loop Header: Depth=2
                                        ;       Child Loop BB1_43 Depth 3
	v_ashrrev_i32_e32 v12, 31, v11
	v_lshlrev_b64 v[12:13], 3, v[11:12]
	v_mov_b32_e32 v14, s51
	v_add_co_u32_e32 v12, vcc, s45, v12
	v_addc_co_u32_e32 v13, vcc, v14, v13, vcc
	global_load_dwordx2 v[14:15], v[12:13], off
	v_mov_b32_e32 v17, v10
	s_andn2_b64 vcc, exec, s[52:53]
	v_mov_b32_e32 v16, v9
	s_mov_b32 s40, s91
	s_mov_b64 s[84:85], s[20:21]
	s_mov_b64 s[86:87], s[70:71]
	s_cbranch_vccnz .LBB1_41
.LBB1_43:                               ;   Parent Loop BB1_4 Depth=1
                                        ;     Parent Loop BB1_42 Depth=2
                                        ; =>    This Inner Loop Header: Depth=3
	global_load_dwordx2 v[37:38], v36, s[86:87]
	global_load_dwordx2 v[39:40], v[16:17], off
	global_load_dwordx2 v[41:42], v36, s[84:85]
	s_add_u32 s86, s86, 8
	s_addc_u32 s87, s87, 0
	s_add_u32 s84, s84, 8
	s_addc_u32 s85, s85, 0
	s_add_i32 s40, s40, -1
	s_cmp_eq_u32 s40, 0
	s_waitcnt vmcnt(2)
	v_mul_f64 v[43:44], v[14:15], v[37:38]
	s_waitcnt vmcnt(1)
	v_mul_f64 v[37:38], v[37:38], v[39:40]
	s_waitcnt vmcnt(0)
	v_fma_f64 v[39:40], v[41:42], v[39:40], -v[43:44]
	v_fma_f64 v[14:15], v[14:15], v[41:42], v[37:38]
	v_mov_b32_e32 v43, s65
	global_store_dwordx2 v[16:17], v[39:40], off
	v_add_co_u32_e32 v16, vcc, s64, v16
	v_addc_co_u32_e32 v17, vcc, v17, v43, vcc
	s_cbranch_scc0 .LBB1_43
	s_branch .LBB1_41
.LBB1_44:                               ;   in Loop: Header=BB1_4 Depth=1
	s_or_b64 exec, exec, s[80:81]
.LBB1_45:                               ;   in Loop: Header=BB1_4 Depth=1
	s_mov_b64 s[80:81], 0
.LBB1_46:                               ;   in Loop: Header=BB1_4 Depth=1
	s_andn2_b64 vcc, exec, s[80:81]
	s_cbranch_vccnz .LBB1_54
; %bb.47:                               ;   in Loop: Header=BB1_4 Depth=1
	s_and_saveexec_b64 s[80:81], s[0:1]
	s_cbranch_execz .LBB1_53
; %bb.48:                               ;   in Loop: Header=BB1_4 Depth=1
	s_lshl_b64 s[40:41], s[66:67], 3
	s_add_u32 s40, s45, s40
	s_addc_u32 s41, s51, s41
	s_mov_b64 s[82:83], 0
	v_mov_b32_e32 v9, v0
	s_branch .LBB1_50
.LBB1_49:                               ;   in Loop: Header=BB1_50 Depth=2
	v_mov_b32_e32 v14, s51
	v_add_co_u32_e32 v10, vcc, s45, v10
	v_addc_co_u32_e32 v11, vcc, v14, v11, vcc
	s_waitcnt vmcnt(0)
	global_store_dwordx2 v[10:11], v[12:13], off
	v_mov_b32_e32 v10, s63
	v_add_co_u32_e32 v5, vcc, s62, v5
	v_add_u32_e32 v9, s58, v9
	v_addc_co_u32_e32 v6, vcc, v6, v10, vcc
	v_cmp_le_i32_e32 vcc, s19, v9
	s_or_b64 s[82:83], vcc, s[82:83]
	v_add_co_u32_e32 v7, vcc, s62, v7
	v_addc_co_u32_e32 v8, vcc, v8, v10, vcc
	s_andn2_b64 exec, exec, s[82:83]
	s_cbranch_execz .LBB1_53
.LBB1_50:                               ;   Parent Loop BB1_4 Depth=1
                                        ; =>  This Loop Header: Depth=2
                                        ;       Child Loop BB1_52 Depth 3
	v_ashrrev_i32_e32 v10, 31, v9
	v_lshlrev_b64 v[10:11], 3, v[9:10]
	v_mov_b32_e32 v13, s41
	v_add_co_u32_e32 v12, vcc, s40, v10
	v_addc_co_u32_e32 v13, vcc, v13, v11, vcc
	global_load_dwordx2 v[12:13], v[12:13], off
	s_andn2_b64 vcc, exec, s[52:53]
	s_cbranch_vccnz .LBB1_49
; %bb.51:                               ;   in Loop: Header=BB1_50 Depth=2
	s_mov_b64 s[84:85], 0
	s_mov_b64 s[86:87], s[78:79]
	;; [unrolled: 1-line block ×3, first 2 shown]
	s_mov_b32 s18, s91
.LBB1_52:                               ;   Parent Loop BB1_4 Depth=1
                                        ;     Parent Loop BB1_50 Depth=2
                                        ; =>    This Inner Loop Header: Depth=3
	v_mov_b32_e32 v42, s85
	v_add_co_u32_e32 v16, vcc, s84, v7
	v_addc_co_u32_e32 v17, vcc, v8, v42, vcc
	global_load_dwordx2 v[14:15], v36, s[86:87]
	s_nop 0
	global_load_dwordx2 v[16:17], v[16:17], off
	s_nop 0
	global_load_dwordx2 v[37:38], v36, s[88:89]
	s_add_i32 s18, s18, -1
	v_add_co_u32_e32 v41, vcc, s84, v5
	s_sub_u32 s84, s84, s64
	s_subb_u32 s85, s85, s65
	s_add_u32 s88, s88, -8
	s_addc_u32 s89, s89, -1
	s_add_u32 s86, s86, -8
	s_addc_u32 s87, s87, -1
	v_addc_co_u32_e32 v42, vcc, v6, v42, vcc
	s_cmp_eq_u32 s18, 0
	s_waitcnt vmcnt(1)
	v_mul_f64 v[39:40], v[14:15], v[16:17]
	s_waitcnt vmcnt(0)
	v_mul_f64 v[16:17], v[37:38], v[16:17]
	v_fma_f64 v[37:38], v[12:13], v[37:38], -v[39:40]
	v_fma_f64 v[12:13], v[12:13], v[14:15], v[16:17]
	global_store_dwordx2 v[41:42], v[37:38], off
	s_cbranch_scc0 .LBB1_52
	s_branch .LBB1_49
.LBB1_53:                               ;   in Loop: Header=BB1_4 Depth=1
	s_or_b64 exec, exec, s[80:81]
.LBB1_54:                               ;   in Loop: Header=BB1_4 Depth=1
	s_mov_b64 s[76:77], 0
.LBB1_55:                               ;   in Loop: Header=BB1_4 Depth=1
	s_andn2_b64 vcc, exec, s[76:77]
	s_cbranch_vccnz .LBB1_62
; %bb.56:                               ;   in Loop: Header=BB1_4 Depth=1
	s_and_saveexec_b64 s[76:77], s[0:1]
	s_cbranch_execz .LBB1_61
; %bb.57:                               ;   in Loop: Header=BB1_4 Depth=1
	s_lshl_b64 s[40:41], s[66:67], 3
	s_add_u32 s40, s45, s40
	s_addc_u32 s41, s51, s41
	s_mov_b64 s[78:79], 0
	v_mov_b32_e32 v5, v0
	s_branch .LBB1_59
.LBB1_58:                               ;   in Loop: Header=BB1_59 Depth=2
	v_mov_b32_e32 v10, s41
	v_add_co_u32_e32 v6, vcc, s40, v6
	v_addc_co_u32_e32 v7, vcc, v10, v7, vcc
	v_add_u32_e32 v5, s58, v5
	v_cmp_le_i32_e32 vcc, s19, v5
	s_waitcnt vmcnt(0)
	global_store_dwordx2 v[6:7], v[8:9], off
	v_mov_b32_e32 v6, s63
	s_or_b64 s[78:79], vcc, s[78:79]
	v_add_co_u32_e32 v3, vcc, s62, v3
	v_addc_co_u32_e32 v4, vcc, v4, v6, vcc
	s_andn2_b64 exec, exec, s[78:79]
	s_cbranch_execz .LBB1_61
.LBB1_59:                               ;   Parent Loop BB1_4 Depth=1
                                        ; =>  This Loop Header: Depth=2
                                        ;       Child Loop BB1_60 Depth 3
	v_ashrrev_i32_e32 v6, 31, v5
	v_lshlrev_b64 v[6:7], 3, v[5:6]
	v_mov_b32_e32 v9, s51
	v_add_co_u32_e32 v8, vcc, s45, v6
	v_addc_co_u32_e32 v9, vcc, v9, v7, vcc
	global_load_dwordx2 v[8:9], v[8:9], off
	v_mov_b32_e32 v11, v4
	s_andn2_b64 vcc, exec, s[52:53]
	s_mov_b64 s[80:81], s[70:71]
	s_mov_b64 s[82:83], s[20:21]
	v_mov_b32_e32 v10, v3
	s_mov_b32 s18, s91
	s_cbranch_vccnz .LBB1_58
.LBB1_60:                               ;   Parent Loop BB1_4 Depth=1
                                        ;     Parent Loop BB1_59 Depth=2
                                        ; =>    This Inner Loop Header: Depth=3
	v_mov_b32_e32 v13, s65
	v_add_co_u32_e32 v12, vcc, s64, v10
	v_addc_co_u32_e32 v13, vcc, v11, v13, vcc
	global_load_dwordx2 v[14:15], v[12:13], off
	global_load_dwordx2 v[16:17], v36, s[80:81]
	global_load_dwordx2 v[37:38], v36, s[82:83]
	s_add_i32 s18, s18, -1
	s_add_u32 s82, s82, 8
	s_addc_u32 s83, s83, 0
	s_add_u32 s80, s80, 8
	s_addc_u32 s81, s81, 0
	s_cmp_eq_u32 s18, 0
	s_waitcnt vmcnt(1)
	v_mul_f64 v[39:40], v[16:17], v[14:15]
	v_mul_f64 v[16:17], v[8:9], v[16:17]
	s_waitcnt vmcnt(0)
	v_fma_f64 v[39:40], v[8:9], v[37:38], v[39:40]
	v_fma_f64 v[8:9], v[37:38], v[14:15], -v[16:17]
	global_store_dwordx2 v[10:11], v[39:40], off
	v_mov_b32_e32 v10, v12
	v_mov_b32_e32 v11, v13
	s_cbranch_scc0 .LBB1_60
	s_branch .LBB1_58
.LBB1_61:                               ;   in Loop: Header=BB1_4 Depth=1
	s_or_b64 exec, exec, s[76:77]
.LBB1_62:                               ;   in Loop: Header=BB1_4 Depth=1
	s_mov_b64 s[76:77], 0
.LBB1_63:                               ;   in Loop: Header=BB1_4 Depth=1
	s_andn2_b64 vcc, exec, s[76:77]
	s_cbranch_vccnz .LBB1_70
; %bb.64:                               ;   in Loop: Header=BB1_4 Depth=1
	s_and_saveexec_b64 s[76:77], s[2:3]
	s_cbranch_execz .LBB1_69
; %bb.65:                               ;   in Loop: Header=BB1_4 Depth=1
	s_lshl_b64 s[40:41], s[54:55], 3
	v_mov_b32_e32 v4, s43
	v_add_co_u32_e32 v3, vcc, s42, v26
	s_add_u32 s40, s45, s40
	v_addc_co_u32_e32 v4, vcc, v27, v4, vcc
	s_addc_u32 s41, s51, s41
	s_mov_b64 s[78:79], 0
	v_mov_b32_e32 v11, v0
	s_branch .LBB1_67
.LBB1_66:                               ;   in Loop: Header=BB1_67 Depth=2
	v_add_u32_e32 v11, s58, v11
	v_cmp_le_i32_e32 vcc, s90, v11
	s_waitcnt vmcnt(0)
	global_store_dwordx2 v[5:6], v[7:8], off offset:-8
	v_mov_b32_e32 v5, s69
	s_or_b64 s[78:79], vcc, s[78:79]
	v_add_co_u32_e32 v3, vcc, s68, v3
	v_addc_co_u32_e32 v4, vcc, v4, v5, vcc
	s_andn2_b64 exec, exec, s[78:79]
	s_cbranch_execz .LBB1_69
.LBB1_67:                               ;   Parent Loop BB1_4 Depth=1
                                        ; =>  This Loop Header: Depth=2
                                        ;       Child Loop BB1_68 Depth 3
	v_mad_i64_i32 v[5:6], s[80:81], v11, s24, 0
	v_mov_b32_e32 v7, s41
	v_mov_b32_e32 v10, v4
	v_lshlrev_b64 v[5:6], 3, v[5:6]
	v_mov_b32_e32 v9, v3
	v_add_co_u32_e32 v5, vcc, s40, v5
	v_addc_co_u32_e32 v6, vcc, v7, v6, vcc
	global_load_dwordx2 v[7:8], v[5:6], off offset:-8
	s_andn2_b64 vcc, exec, s[56:57]
	s_mov_b64 s[80:81], s[74:75]
	s_mov_b64 s[82:83], s[72:73]
	s_mov_b32 s18, s50
	s_cbranch_vccnz .LBB1_66
.LBB1_68:                               ;   Parent Loop BB1_4 Depth=1
                                        ;     Parent Loop BB1_67 Depth=2
                                        ; =>    This Inner Loop Header: Depth=3
	global_load_dwordx2 v[12:13], v[9:10], off
	global_load_dwordx2 v[14:15], v36, s[82:83]
	global_load_dwordx2 v[16:17], v36, s[80:81]
	s_add_i32 s18, s18, -1
	s_add_u32 s82, s82, -8
	s_addc_u32 s83, s83, -1
	s_add_u32 s80, s80, -8
	s_addc_u32 s81, s81, -1
	s_cmp_eq_u32 s18, 0
	s_waitcnt vmcnt(1)
	v_mul_f64 v[37:38], v[14:15], v[12:13]
	s_waitcnt vmcnt(0)
	v_mul_f64 v[12:13], v[16:17], v[12:13]
	v_fma_f64 v[16:17], v[7:8], v[16:17], v[37:38]
	v_fma_f64 v[7:8], v[7:8], v[14:15], -v[12:13]
	global_store_dwordx2 v[9:10], v[16:17], off
	v_add_co_u32_e32 v9, vcc, -8, v9
	v_addc_co_u32_e32 v10, vcc, -1, v10, vcc
	s_cbranch_scc0 .LBB1_68
	s_branch .LBB1_66
.LBB1_69:                               ;   in Loop: Header=BB1_4 Depth=1
	s_or_b64 exec, exec, s[76:77]
.LBB1_70:                               ;   in Loop: Header=BB1_4 Depth=1
	s_mov_b64 s[76:77], 0
.LBB1_71:                               ;   in Loop: Header=BB1_4 Depth=1
	s_andn2_b64 vcc, exec, s[76:77]
	s_cbranch_vccnz .LBB1_78
; %bb.72:                               ;   in Loop: Header=BB1_4 Depth=1
	s_and_saveexec_b64 s[76:77], s[2:3]
	s_cbranch_execz .LBB1_77
; %bb.73:                               ;   in Loop: Header=BB1_4 Depth=1
	s_lshl_b64 s[40:41], s[54:55], 3
	v_mov_b32_e32 v4, s43
	v_add_co_u32_e32 v3, vcc, s42, v28
	s_add_u32 s40, s45, s40
	v_addc_co_u32_e32 v4, vcc, v29, v4, vcc
	s_addc_u32 s41, s51, s41
	s_mov_b64 s[78:79], 0
	v_mov_b32_e32 v11, v0
	s_branch .LBB1_75
.LBB1_74:                               ;   in Loop: Header=BB1_75 Depth=2
	v_add_u32_e32 v11, s58, v11
	v_cmp_le_i32_e32 vcc, s90, v11
	s_waitcnt vmcnt(0)
	global_store_dwordx2 v[5:6], v[7:8], off offset:-8
	v_mov_b32_e32 v5, s69
	s_or_b64 s[78:79], vcc, s[78:79]
	v_add_co_u32_e32 v3, vcc, s68, v3
	v_addc_co_u32_e32 v4, vcc, v4, v5, vcc
	s_andn2_b64 exec, exec, s[78:79]
	s_cbranch_execz .LBB1_77
.LBB1_75:                               ;   Parent Loop BB1_4 Depth=1
                                        ; =>  This Loop Header: Depth=2
                                        ;       Child Loop BB1_76 Depth 3
	v_mad_i64_i32 v[5:6], s[80:81], v11, s24, 0
	v_mov_b32_e32 v7, s41
	v_mov_b32_e32 v10, v4
	v_lshlrev_b64 v[5:6], 3, v[5:6]
	v_mov_b32_e32 v9, v3
	v_add_co_u32_e32 v5, vcc, s40, v5
	v_addc_co_u32_e32 v6, vcc, v7, v6, vcc
	global_load_dwordx2 v[7:8], v[5:6], off offset:-8
	s_andn2_b64 vcc, exec, s[56:57]
	s_mov_b64 s[80:81], s[70:71]
	s_mov_b64 s[82:83], s[20:21]
	s_mov_b32 s18, s50
	s_cbranch_vccnz .LBB1_74
.LBB1_76:                               ;   Parent Loop BB1_4 Depth=1
                                        ;     Parent Loop BB1_75 Depth=2
                                        ; =>    This Inner Loop Header: Depth=3
	global_load_dwordx2 v[12:13], v[9:10], off
	global_load_dwordx2 v[14:15], v36, s[82:83]
	global_load_dwordx2 v[16:17], v36, s[80:81]
	s_add_i32 s18, s18, -1
	s_add_u32 s82, s82, 8
	s_addc_u32 s83, s83, 0
	s_add_u32 s80, s80, 8
	s_addc_u32 s81, s81, 0
	s_cmp_eq_u32 s18, 0
	s_waitcnt vmcnt(1)
	v_mul_f64 v[37:38], v[14:15], v[12:13]
	s_waitcnt vmcnt(0)
	v_mul_f64 v[12:13], v[16:17], v[12:13]
	v_fma_f64 v[16:17], v[7:8], v[16:17], v[37:38]
	v_fma_f64 v[7:8], v[7:8], v[14:15], -v[12:13]
	global_store_dwordx2 v[9:10], v[16:17], off
	v_add_co_u32_e32 v9, vcc, 8, v9
	v_addc_co_u32_e32 v10, vcc, 0, v10, vcc
	s_cbranch_scc0 .LBB1_76
	s_branch .LBB1_74
.LBB1_77:                               ;   in Loop: Header=BB1_4 Depth=1
	s_or_b64 exec, exec, s[76:77]
.LBB1_78:                               ;   in Loop: Header=BB1_4 Depth=1
	s_mov_b64 s[76:77], 0
.LBB1_79:                               ;   in Loop: Header=BB1_4 Depth=1
	s_andn2_b64 vcc, exec, s[76:77]
	s_cbranch_vccnz .LBB1_86
; %bb.80:                               ;   in Loop: Header=BB1_4 Depth=1
	s_and_saveexec_b64 s[76:77], s[2:3]
	s_cbranch_execz .LBB1_85
; %bb.81:                               ;   in Loop: Header=BB1_4 Depth=1
	v_mov_b32_e32 v4, s43
	v_add_co_u32_e32 v3, vcc, s42, v30
	v_addc_co_u32_e32 v4, vcc, v31, v4, vcc
	s_mov_b64 s[78:79], 0
	v_mov_b32_e32 v11, v0
	s_branch .LBB1_83
.LBB1_82:                               ;   in Loop: Header=BB1_83 Depth=2
	v_add_u32_e32 v11, s58, v11
	v_cmp_le_i32_e32 vcc, s90, v11
	s_waitcnt vmcnt(0)
	global_store_dwordx2 v[5:6], v[7:8], off
	v_mov_b32_e32 v5, s69
	s_or_b64 s[78:79], vcc, s[78:79]
	v_add_co_u32_e32 v3, vcc, s68, v3
	v_addc_co_u32_e32 v4, vcc, v4, v5, vcc
	s_andn2_b64 exec, exec, s[78:79]
	s_cbranch_execz .LBB1_85
.LBB1_83:                               ;   Parent Loop BB1_4 Depth=1
                                        ; =>  This Loop Header: Depth=2
                                        ;       Child Loop BB1_84 Depth 3
	v_mad_i64_i32 v[5:6], s[40:41], v11, s24, 0
	v_mov_b32_e32 v7, s51
	v_mov_b32_e32 v10, v4
	v_lshlrev_b64 v[5:6], 3, v[5:6]
	v_mov_b32_e32 v9, v3
	v_add_co_u32_e32 v5, vcc, s45, v5
	v_addc_co_u32_e32 v6, vcc, v7, v6, vcc
	global_load_dwordx2 v[7:8], v[5:6], off
	s_andn2_b64 vcc, exec, s[56:57]
	s_mov_b64 s[80:81], s[74:75]
	s_mov_b64 s[82:83], s[72:73]
	s_mov_b32 s18, s44
	s_cbranch_vccnz .LBB1_82
.LBB1_84:                               ;   Parent Loop BB1_4 Depth=1
                                        ;     Parent Loop BB1_83 Depth=2
                                        ; =>    This Inner Loop Header: Depth=3
	global_load_dwordx2 v[12:13], v36, s[80:81]
	global_load_dwordx2 v[14:15], v[9:10], off
	global_load_dwordx2 v[16:17], v36, s[82:83]
	s_add_i32 s18, s18, -1
	s_add_u32 s82, s82, -8
	s_addc_u32 s83, s83, -1
	s_add_u32 s80, s80, -8
	s_addc_u32 s81, s81, -1
	s_cmp_lt_u32 s18, 3
	s_waitcnt vmcnt(2)
	v_mul_f64 v[37:38], v[7:8], v[12:13]
	s_waitcnt vmcnt(1)
	v_mul_f64 v[12:13], v[12:13], v[14:15]
	s_waitcnt vmcnt(0)
	v_fma_f64 v[14:15], v[16:17], v[14:15], -v[37:38]
	v_fma_f64 v[7:8], v[7:8], v[16:17], v[12:13]
	global_store_dwordx2 v[9:10], v[14:15], off
	v_add_co_u32_e32 v9, vcc, -8, v9
	v_addc_co_u32_e32 v10, vcc, -1, v10, vcc
	s_cbranch_scc0 .LBB1_84
	s_branch .LBB1_82
.LBB1_85:                               ;   in Loop: Header=BB1_4 Depth=1
	s_or_b64 exec, exec, s[76:77]
.LBB1_86:                               ;   in Loop: Header=BB1_4 Depth=1
	s_mov_b64 s[76:77], 0
.LBB1_87:                               ;   in Loop: Header=BB1_4 Depth=1
	s_andn2_b64 vcc, exec, s[76:77]
	s_cbranch_vccnz .LBB1_94
; %bb.88:                               ;   in Loop: Header=BB1_4 Depth=1
	s_and_saveexec_b64 s[76:77], s[2:3]
	s_cbranch_execz .LBB1_93
; %bb.89:                               ;   in Loop: Header=BB1_4 Depth=1
	v_mov_b32_e32 v4, v2
	s_mov_b64 s[78:79], 0
	v_mov_b32_e32 v3, v1
	v_mov_b32_e32 v11, v0
	s_branch .LBB1_91
.LBB1_90:                               ;   in Loop: Header=BB1_91 Depth=2
	v_add_u32_e32 v11, s58, v11
	v_cmp_le_i32_e32 vcc, s90, v11
	s_waitcnt vmcnt(0)
	global_store_dwordx2 v[5:6], v[7:8], off
	v_mov_b32_e32 v5, s69
	s_or_b64 s[78:79], vcc, s[78:79]
	v_add_co_u32_e32 v3, vcc, s68, v3
	v_addc_co_u32_e32 v4, vcc, v4, v5, vcc
	s_andn2_b64 exec, exec, s[78:79]
	s_cbranch_execz .LBB1_93
.LBB1_91:                               ;   Parent Loop BB1_4 Depth=1
                                        ; =>  This Loop Header: Depth=2
                                        ;       Child Loop BB1_92 Depth 3
	v_mad_i64_i32 v[5:6], s[40:41], v11, s24, 0
	v_mov_b32_e32 v7, s51
	v_mov_b32_e32 v10, v4
	v_lshlrev_b64 v[5:6], 3, v[5:6]
	v_mov_b32_e32 v9, v3
	v_add_co_u32_e32 v5, vcc, s45, v5
	v_addc_co_u32_e32 v6, vcc, v7, v6, vcc
	global_load_dwordx2 v[7:8], v[5:6], off
	s_andn2_b64 vcc, exec, s[56:57]
	s_mov_b32 s18, s50
	s_mov_b64 s[80:81], s[20:21]
	s_mov_b64 s[82:83], s[70:71]
	s_cbranch_vccnz .LBB1_90
.LBB1_92:                               ;   Parent Loop BB1_4 Depth=1
                                        ;     Parent Loop BB1_91 Depth=2
                                        ; =>    This Inner Loop Header: Depth=3
	global_load_dwordx2 v[12:13], v36, s[82:83]
	global_load_dwordx2 v[14:15], v[9:10], off
	global_load_dwordx2 v[16:17], v36, s[80:81]
	s_add_u32 s82, s82, 8
	s_addc_u32 s83, s83, 0
	s_add_u32 s80, s80, 8
	s_addc_u32 s81, s81, 0
	s_add_i32 s18, s18, -1
	s_cmp_eq_u32 s18, 0
	s_waitcnt vmcnt(2)
	v_mul_f64 v[37:38], v[7:8], v[12:13]
	s_waitcnt vmcnt(1)
	v_mul_f64 v[12:13], v[12:13], v[14:15]
	s_waitcnt vmcnt(0)
	v_fma_f64 v[14:15], v[16:17], v[14:15], -v[37:38]
	v_fma_f64 v[7:8], v[7:8], v[16:17], v[12:13]
	global_store_dwordx2 v[9:10], v[14:15], off
	v_add_co_u32_e32 v9, vcc, 8, v9
	v_addc_co_u32_e32 v10, vcc, 0, v10, vcc
	s_cbranch_scc0 .LBB1_92
	s_branch .LBB1_90
.LBB1_93:                               ;   in Loop: Header=BB1_4 Depth=1
	s_or_b64 exec, exec, s[76:77]
.LBB1_94:                               ;   in Loop: Header=BB1_4 Depth=1
	s_mov_b64 s[76:77], 0
.LBB1_95:                               ;   in Loop: Header=BB1_4 Depth=1
	s_andn2_b64 vcc, exec, s[76:77]
	s_cbranch_vccnz .LBB1_102
; %bb.96:                               ;   in Loop: Header=BB1_4 Depth=1
	s_and_saveexec_b64 s[76:77], s[2:3]
	s_cbranch_execz .LBB1_101
; %bb.97:                               ;   in Loop: Header=BB1_4 Depth=1
	s_lshl_b64 s[40:41], s[54:55], 3
	v_mov_b32_e32 v4, s43
	v_add_co_u32_e32 v3, vcc, s42, v34
	s_add_u32 s40, s45, s40
	v_addc_co_u32_e32 v4, vcc, v35, v4, vcc
	s_addc_u32 s41, s51, s41
	s_mov_b64 s[78:79], 0
	v_mov_b32_e32 v11, v0
	s_branch .LBB1_99
.LBB1_98:                               ;   in Loop: Header=BB1_99 Depth=2
	v_mov_b32_e32 v9, s51
	v_add_co_u32_e32 v5, vcc, s45, v5
	v_addc_co_u32_e32 v6, vcc, v9, v6, vcc
	v_add_u32_e32 v11, s58, v11
	v_cmp_le_i32_e32 vcc, s90, v11
	s_waitcnt vmcnt(0)
	global_store_dwordx2 v[5:6], v[7:8], off
	v_mov_b32_e32 v5, s69
	s_or_b64 s[78:79], vcc, s[78:79]
	v_add_co_u32_e32 v3, vcc, s68, v3
	v_addc_co_u32_e32 v4, vcc, v4, v5, vcc
	s_andn2_b64 exec, exec, s[78:79]
	s_cbranch_execz .LBB1_101
.LBB1_99:                               ;   Parent Loop BB1_4 Depth=1
                                        ; =>  This Loop Header: Depth=2
                                        ;       Child Loop BB1_100 Depth 3
	v_mad_i64_i32 v[5:6], s[42:43], v11, s24, 0
	v_mov_b32_e32 v8, s41
	v_mov_b32_e32 v10, v4
	v_lshlrev_b64 v[5:6], 3, v[5:6]
	v_mov_b32_e32 v9, v3
	v_add_co_u32_e32 v7, vcc, s40, v5
	v_addc_co_u32_e32 v8, vcc, v8, v6, vcc
	global_load_dwordx2 v[7:8], v[7:8], off offset:-8
	s_andn2_b64 vcc, exec, s[56:57]
	s_mov_b64 s[80:81], s[74:75]
	s_mov_b64 s[82:83], s[72:73]
	s_mov_b32 s18, s50
	s_cbranch_vccnz .LBB1_98
.LBB1_100:                              ;   Parent Loop BB1_4 Depth=1
                                        ;     Parent Loop BB1_99 Depth=2
                                        ; =>    This Inner Loop Header: Depth=3
	global_load_dwordx2 v[12:13], v[9:10], off offset:-8
	global_load_dwordx2 v[14:15], v36, s[80:81]
	global_load_dwordx2 v[16:17], v36, s[82:83]
	s_add_i32 s18, s18, -1
	s_add_u32 s82, s82, -8
	s_addc_u32 s83, s83, -1
	v_add_co_u32_e32 v39, vcc, -8, v9
	s_add_u32 s80, s80, -8
	v_addc_co_u32_e32 v40, vcc, -1, v10, vcc
	s_addc_u32 s81, s81, -1
	s_cmp_eq_u32 s18, 0
	s_waitcnt vmcnt(1)
	v_mul_f64 v[37:38], v[14:15], v[12:13]
	s_waitcnt vmcnt(0)
	v_mul_f64 v[12:13], v[16:17], v[12:13]
	v_fma_f64 v[16:17], v[7:8], v[16:17], -v[37:38]
	v_fma_f64 v[7:8], v[7:8], v[14:15], v[12:13]
	global_store_dwordx2 v[9:10], v[16:17], off
	v_mov_b32_e32 v9, v39
	v_mov_b32_e32 v10, v40
	s_cbranch_scc0 .LBB1_100
	s_branch .LBB1_98
.LBB1_101:                              ;   in Loop: Header=BB1_4 Depth=1
	s_or_b64 exec, exec, s[76:77]
.LBB1_102:                              ;   in Loop: Header=BB1_4 Depth=1
	s_cbranch_execnz .LBB1_3
.LBB1_103:                              ;   in Loop: Header=BB1_4 Depth=1
	s_and_saveexec_b64 s[72:73], s[2:3]
	s_cbranch_execz .LBB1_2
; %bb.104:                              ;   in Loop: Header=BB1_4 Depth=1
	s_lshl_b64 s[40:41], s[54:55], 3
	s_add_u32 s40, s45, s40
	s_addc_u32 s41, s51, s41
	s_mov_b64 s[74:75], 0
	v_mov_b32_e32 v9, v0
	s_branch .LBB1_106
.LBB1_105:                              ;   in Loop: Header=BB1_106 Depth=2
	v_mov_b32_e32 v7, s41
	v_add_co_u32_e32 v3, vcc, s40, v3
	v_addc_co_u32_e32 v4, vcc, v7, v4, vcc
	v_add_u32_e32 v9, s58, v9
	v_cmp_le_i32_e32 vcc, s90, v9
	s_waitcnt vmcnt(0)
	global_store_dwordx2 v[3:4], v[5:6], off offset:-8
	v_mov_b32_e32 v3, s69
	s_or_b64 s[74:75], vcc, s[74:75]
	v_add_co_u32_e32 v1, vcc, s68, v1
	v_addc_co_u32_e32 v2, vcc, v2, v3, vcc
	s_andn2_b64 exec, exec, s[74:75]
	s_cbranch_execz .LBB1_2
.LBB1_106:                              ;   Parent Loop BB1_4 Depth=1
                                        ; =>  This Loop Header: Depth=2
                                        ;       Child Loop BB1_107 Depth 3
	v_mad_i64_i32 v[3:4], s[42:43], v9, s24, 0
	v_mov_b32_e32 v6, s51
	v_mov_b32_e32 v8, v2
	v_lshlrev_b64 v[3:4], 3, v[3:4]
	s_mov_b64 s[76:77], s[70:71]
	v_add_co_u32_e32 v5, vcc, s45, v3
	v_addc_co_u32_e32 v6, vcc, v6, v4, vcc
	global_load_dwordx2 v[5:6], v[5:6], off
	s_andn2_b64 vcc, exec, s[56:57]
	s_mov_b64 s[78:79], s[20:21]
	v_mov_b32_e32 v7, v1
	s_mov_b32 s18, s50
	s_cbranch_vccnz .LBB1_105
.LBB1_107:                              ;   Parent Loop BB1_4 Depth=1
                                        ;     Parent Loop BB1_106 Depth=2
                                        ; =>    This Inner Loop Header: Depth=3
	global_load_dwordx2 v[10:11], v[7:8], off
	global_load_dwordx2 v[12:13], v36, s[76:77]
	global_load_dwordx2 v[14:15], v36, s[78:79]
	s_add_i32 s18, s18, -1
	s_add_u32 s78, s78, 8
	s_addc_u32 s79, s79, 0
	s_add_u32 s76, s76, 8
	s_addc_u32 s77, s77, 0
	s_cmp_eq_u32 s18, 0
	s_waitcnt vmcnt(1)
	v_mul_f64 v[16:17], v[12:13], v[10:11]
	v_mul_f64 v[12:13], v[5:6], v[12:13]
	s_waitcnt vmcnt(0)
	v_fma_f64 v[16:17], v[5:6], v[14:15], v[16:17]
	v_fma_f64 v[5:6], v[14:15], v[10:11], -v[12:13]
	global_store_dwordx2 v[7:8], v[16:17], off offset:-8
	v_add_co_u32_e32 v7, vcc, 8, v7
	v_addc_co_u32_e32 v8, vcc, 0, v8, vcc
	s_cbranch_scc0 .LBB1_107
	s_branch .LBB1_105
.LBB1_108:
	s_endpgm
	.section	.rodata,"a",@progbits
	.p2align	6, 0x0
	.amdhsa_kernel _ZN9rocsolver6v33100L11lasr_kernelIddPdiEEv13rocblas_side_14rocblas_pivot_15rocblas_direct_T2_S6_PT0_lS8_lT1_lS6_lS6_
		.amdhsa_group_segment_fixed_size 0
		.amdhsa_private_segment_fixed_size 0
		.amdhsa_kernarg_size 352
		.amdhsa_user_sgpr_count 6
		.amdhsa_user_sgpr_private_segment_buffer 1
		.amdhsa_user_sgpr_dispatch_ptr 0
		.amdhsa_user_sgpr_queue_ptr 0
		.amdhsa_user_sgpr_kernarg_segment_ptr 1
		.amdhsa_user_sgpr_dispatch_id 0
		.amdhsa_user_sgpr_flat_scratch_init 0
		.amdhsa_user_sgpr_private_segment_size 0
		.amdhsa_uses_dynamic_stack 0
		.amdhsa_system_sgpr_private_segment_wavefront_offset 0
		.amdhsa_system_sgpr_workgroup_id_x 1
		.amdhsa_system_sgpr_workgroup_id_y 0
		.amdhsa_system_sgpr_workgroup_id_z 1
		.amdhsa_system_sgpr_workgroup_info 0
		.amdhsa_system_vgpr_workitem_id 0
		.amdhsa_next_free_vgpr 46
		.amdhsa_next_free_sgpr 96
		.amdhsa_reserve_vcc 1
		.amdhsa_reserve_flat_scratch 0
		.amdhsa_float_round_mode_32 0
		.amdhsa_float_round_mode_16_64 0
		.amdhsa_float_denorm_mode_32 3
		.amdhsa_float_denorm_mode_16_64 3
		.amdhsa_dx10_clamp 1
		.amdhsa_ieee_mode 1
		.amdhsa_fp16_overflow 0
		.amdhsa_exception_fp_ieee_invalid_op 0
		.amdhsa_exception_fp_denorm_src 0
		.amdhsa_exception_fp_ieee_div_zero 0
		.amdhsa_exception_fp_ieee_overflow 0
		.amdhsa_exception_fp_ieee_underflow 0
		.amdhsa_exception_fp_ieee_inexact 0
		.amdhsa_exception_int_div_zero 0
	.end_amdhsa_kernel
	.section	.text._ZN9rocsolver6v33100L11lasr_kernelIddPdiEEv13rocblas_side_14rocblas_pivot_15rocblas_direct_T2_S6_PT0_lS8_lT1_lS6_lS6_,"axG",@progbits,_ZN9rocsolver6v33100L11lasr_kernelIddPdiEEv13rocblas_side_14rocblas_pivot_15rocblas_direct_T2_S6_PT0_lS8_lT1_lS6_lS6_,comdat
.Lfunc_end1:
	.size	_ZN9rocsolver6v33100L11lasr_kernelIddPdiEEv13rocblas_side_14rocblas_pivot_15rocblas_direct_T2_S6_PT0_lS8_lT1_lS6_lS6_, .Lfunc_end1-_ZN9rocsolver6v33100L11lasr_kernelIddPdiEEv13rocblas_side_14rocblas_pivot_15rocblas_direct_T2_S6_PT0_lS8_lT1_lS6_lS6_
                                        ; -- End function
	.set _ZN9rocsolver6v33100L11lasr_kernelIddPdiEEv13rocblas_side_14rocblas_pivot_15rocblas_direct_T2_S6_PT0_lS8_lT1_lS6_lS6_.num_vgpr, 46
	.set _ZN9rocsolver6v33100L11lasr_kernelIddPdiEEv13rocblas_side_14rocblas_pivot_15rocblas_direct_T2_S6_PT0_lS8_lT1_lS6_lS6_.num_agpr, 0
	.set _ZN9rocsolver6v33100L11lasr_kernelIddPdiEEv13rocblas_side_14rocblas_pivot_15rocblas_direct_T2_S6_PT0_lS8_lT1_lS6_lS6_.numbered_sgpr, 96
	.set _ZN9rocsolver6v33100L11lasr_kernelIddPdiEEv13rocblas_side_14rocblas_pivot_15rocblas_direct_T2_S6_PT0_lS8_lT1_lS6_lS6_.num_named_barrier, 0
	.set _ZN9rocsolver6v33100L11lasr_kernelIddPdiEEv13rocblas_side_14rocblas_pivot_15rocblas_direct_T2_S6_PT0_lS8_lT1_lS6_lS6_.private_seg_size, 0
	.set _ZN9rocsolver6v33100L11lasr_kernelIddPdiEEv13rocblas_side_14rocblas_pivot_15rocblas_direct_T2_S6_PT0_lS8_lT1_lS6_lS6_.uses_vcc, 1
	.set _ZN9rocsolver6v33100L11lasr_kernelIddPdiEEv13rocblas_side_14rocblas_pivot_15rocblas_direct_T2_S6_PT0_lS8_lT1_lS6_lS6_.uses_flat_scratch, 0
	.set _ZN9rocsolver6v33100L11lasr_kernelIddPdiEEv13rocblas_side_14rocblas_pivot_15rocblas_direct_T2_S6_PT0_lS8_lT1_lS6_lS6_.has_dyn_sized_stack, 0
	.set _ZN9rocsolver6v33100L11lasr_kernelIddPdiEEv13rocblas_side_14rocblas_pivot_15rocblas_direct_T2_S6_PT0_lS8_lT1_lS6_lS6_.has_recursion, 0
	.set _ZN9rocsolver6v33100L11lasr_kernelIddPdiEEv13rocblas_side_14rocblas_pivot_15rocblas_direct_T2_S6_PT0_lS8_lT1_lS6_lS6_.has_indirect_call, 0
	.section	.AMDGPU.csdata,"",@progbits
; Kernel info:
; codeLenInByte = 4560
; TotalNumSgprs: 100
; NumVgprs: 46
; ScratchSize: 0
; MemoryBound: 0
; FloatMode: 240
; IeeeMode: 1
; LDSByteSize: 0 bytes/workgroup (compile time only)
; SGPRBlocks: 12
; VGPRBlocks: 11
; NumSGPRsForWavesPerEU: 100
; NumVGPRsForWavesPerEU: 46
; Occupancy: 5
; WaveLimiterHint : 0
; COMPUTE_PGM_RSRC2:SCRATCH_EN: 0
; COMPUTE_PGM_RSRC2:USER_SGPR: 6
; COMPUTE_PGM_RSRC2:TRAP_HANDLER: 0
; COMPUTE_PGM_RSRC2:TGID_X_EN: 1
; COMPUTE_PGM_RSRC2:TGID_Y_EN: 0
; COMPUTE_PGM_RSRC2:TGID_Z_EN: 1
; COMPUTE_PGM_RSRC2:TIDIG_COMP_CNT: 0
	.section	.text._ZN9rocsolver6v33100L11lasr_kernelI19rocblas_complex_numIfEfPS3_iEEv13rocblas_side_14rocblas_pivot_15rocblas_direct_T2_S8_PT0_lSA_lT1_lS8_lS8_,"axG",@progbits,_ZN9rocsolver6v33100L11lasr_kernelI19rocblas_complex_numIfEfPS3_iEEv13rocblas_side_14rocblas_pivot_15rocblas_direct_T2_S8_PT0_lSA_lT1_lS8_lS8_,comdat
	.globl	_ZN9rocsolver6v33100L11lasr_kernelI19rocblas_complex_numIfEfPS3_iEEv13rocblas_side_14rocblas_pivot_15rocblas_direct_T2_S8_PT0_lSA_lT1_lS8_lS8_ ; -- Begin function _ZN9rocsolver6v33100L11lasr_kernelI19rocblas_complex_numIfEfPS3_iEEv13rocblas_side_14rocblas_pivot_15rocblas_direct_T2_S8_PT0_lSA_lT1_lS8_lS8_
	.p2align	8
	.type	_ZN9rocsolver6v33100L11lasr_kernelI19rocblas_complex_numIfEfPS3_iEEv13rocblas_side_14rocblas_pivot_15rocblas_direct_T2_S8_PT0_lSA_lT1_lS8_lS8_,@function
_ZN9rocsolver6v33100L11lasr_kernelI19rocblas_complex_numIfEfPS3_iEEv13rocblas_side_14rocblas_pivot_15rocblas_direct_T2_S8_PT0_lSA_lT1_lS8_lS8_: ; @_ZN9rocsolver6v33100L11lasr_kernelI19rocblas_complex_numIfEfPS3_iEEv13rocblas_side_14rocblas_pivot_15rocblas_direct_T2_S8_PT0_lSA_lT1_lS8_lS8_
; %bb.0:
	s_load_dword s33, s[4:5], 0x58
	s_waitcnt lgkmcnt(0)
	s_cmp_ge_u32 s7, s33
	s_cbranch_scc1 .LBB2_108
; %bb.1:
	s_load_dword s24, s[4:5], 0x48
	s_load_dwordx2 s[26:27], s[4:5], 0x68
	s_load_dwordx4 s[20:23], s[4:5], 0x38
	s_load_dwordx4 s[16:19], s[4:5], 0x0
	s_load_dword s90, s[4:5], 0x10
	s_waitcnt lgkmcnt(0)
	s_ashr_i32 s25, s24, 31
	s_and_b32 s45, s27, 0xffff
	s_mul_i32 s6, s6, s45
	s_lshl_b64 s[2:3], s[22:23], 3
	v_add_u32_e32 v0, s6, v0
	s_add_u32 s6, s20, s2
	s_addc_u32 s27, s21, s3
	s_cmpk_eq_i32 s16, 0x8d
	s_cselect_b64 s[0:1], -1, 0
	s_cmpk_eq_i32 s16, 0x8e
	s_cselect_b64 s[8:9], -1, 0
	;; [unrolled: 2-line block ×7, first 2 shown]
	s_and_b64 s[22:23], s[0:1], s[10:11]
	s_and_b64 s[30:31], s[0:1], s[14:15]
	;; [unrolled: 1-line block ×5, first 2 shown]
	s_xor_b64 s[36:37], s[0:1], -1
	s_and_b64 s[0:1], s[8:9], s[10:11]
	s_and_b64 s[10:11], s[0:1], s[40:41]
	s_and_b64 s[0:1], s[0:1], s[42:43]
	s_xor_b64 s[0:1], s[0:1], -1
                                        ; implicit-def: $vgpr46 : SGPR spill to VGPR lane
	s_xor_b64 s[38:39], s[10:11], -1
	v_writelane_b32 v46, s0, 0
	v_writelane_b32 v46, s1, 1
	s_and_b64 s[0:1], s[8:9], s[14:15]
	s_and_b64 s[10:11], s[0:1], s[40:41]
	s_xor_b64 s[10:11], s[10:11], -1
	v_writelane_b32 v46, s10, 2
	s_and_b64 s[0:1], s[0:1], s[42:43]
	v_writelane_b32 v46, s11, 3
	s_xor_b64 s[0:1], s[0:1], -1
	v_writelane_b32 v46, s0, 4
	s_and_b64 s[8:9], s[8:9], s[12:13]
	v_writelane_b32 v46, s1, 5
	s_and_b64 s[0:1], s[8:9], s[40:41]
	s_xor_b64 s[0:1], s[0:1], -1
	v_writelane_b32 v46, s0, 6
	v_writelane_b32 v46, s1, 7
	v_cmp_gt_i32_e64 s[0:1], s19, v0
	s_and_b64 s[10:11], s[42:43], s[0:1]
	s_and_b64 s[8:9], s[8:9], s[10:11]
	;; [unrolled: 1-line block ×6, first 2 shown]
	v_writelane_b32 v46, s8, 8
	s_xor_b64 s[16:17], s[16:17], -1
	s_xor_b64 s[22:23], s[22:23], -1
	;; [unrolled: 1-line block ×5, first 2 shown]
	v_writelane_b32 v46, s9, 9
	s_add_i32 s91, s90, -1
	s_add_i32 s50, s90, -2
	s_load_dwordx8 s[8:15], s[4:5], 0x18
	s_cmp_gt_i32 s90, 1
	s_cselect_b64 s[52:53], -1, 0
	s_ashr_i32 s55, s19, 31
	s_add_i32 s40, s19, -2
	s_cmp_gt_i32 s19, 1
	s_mov_b32 s51, 0
	s_cselect_b64 s[56:57], -1, 0
	s_lshl_b64 s[42:43], s[50:51], 2
	s_waitcnt lgkmcnt(0)
	s_add_u32 s18, s8, s42
	s_addc_u32 s92, s9, s43
	s_lshl_b64 s[10:11], s[10:11], 2
	s_load_dword s44, s[4:5], 0x60
	v_writelane_b32 v46, s18, 10
	s_add_u32 s93, s12, s42
	s_mul_i32 s18, s25, s50
	s_mul_hi_u32 s41, s24, s50
	s_addc_u32 s94, s13, s43
	s_add_i32 s43, s41, s18
	s_mul_i32 s42, s24, s50
	s_lshl_b64 s[42:43], s[42:43], 3
	s_lshl_b64 s[14:15], s[14:15], 2
	s_load_dwordx2 s[4:5], s[4:5], 0x50
	s_add_u32 s18, s42, s2
	s_addc_u32 s41, s43, s3
	v_ashrrev_i32_e32 v1, 31, v0
	s_add_u32 s18, s20, s18
	v_lshlrev_b64 v[1:2], 3, v[0:1]
	s_waitcnt lgkmcnt(0)
	s_mul_i32 s58, s44, s45
	s_addc_u32 s41, s21, s41
	s_ashr_i32 s59, s58, 31
	v_mov_b32_e32 v3, s41
	v_add_co_u32_e32 v14, vcc, s18, v1
	s_lshl_b64 s[60:61], s[4:5], 3
	s_lshl_b64 s[62:63], s[58:59], 3
	;; [unrolled: 1-line block ×3, first 2 shown]
	v_addc_co_u32_e32 v15, vcc, v3, v2, vcc
	s_sub_u32 s59, 0, s64
	s_mul_i32 s18, s25, s91
	s_mul_hi_u32 s25, s24, s91
	s_mul_i32 s66, s24, s91
	v_add_co_u32_e32 v16, vcc, 4, v14
	s_subb_u32 s95, 0, s65
	s_add_i32 s43, s25, s18
	s_mov_b32 s42, s66
	v_addc_co_u32_e32 v17, vcc, 0, v15, vcc
	s_lshl_b64 s[42:43], s[42:43], 3
	s_add_i32 s25, s90, 1
	v_mov_b32_e32 v3, s27
	v_add_co_u32_e32 v4, vcc, s6, v1
	s_add_u32 s18, s42, s2
	v_addc_co_u32_e32 v3, vcc, v3, v2, vcc
	s_addc_u32 s41, s43, s3
	v_add_co_u32_e32 v18, vcc, 4, v4
	s_add_u32 s18, s20, s18
	v_addc_co_u32_e32 v19, vcc, 0, v3, vcc
	s_addc_u32 s41, s21, s41
	v_mov_b32_e32 v3, s41
	v_add_co_u32_e32 v4, vcc, s18, v1
	s_add_u32 s18, s2, s64
	v_addc_co_u32_e32 v3, vcc, v3, v2, vcc
	s_addc_u32 s41, s3, s65
	v_add_co_u32_e32 v20, vcc, 4, v4
	s_add_u32 s18, s20, s18
	v_addc_co_u32_e32 v21, vcc, 0, v3, vcc
	s_addc_u32 s41, s21, s41
	v_mov_b32_e32 v3, s41
	v_add_co_u32_e32 v4, vcc, s18, v1
	v_addc_co_u32_e32 v3, vcc, v3, v2, vcc
	v_mad_i64_i32 v[1:2], s[42:43], s24, v0, 0
	v_add_co_u32_e32 v22, vcc, 4, v4
	v_lshlrev_b64 v[1:2], 3, v[1:2]
	v_addc_co_u32_e32 v23, vcc, 0, v3, vcc
	s_mov_b32 s41, s51
	v_mov_b32_e32 v3, s3
	v_add_co_u32_e32 v1, vcc, s2, v1
	s_add_i32 s50, s19, -1
	s_lshl_b64 s[2:3], s[40:41], 2
	s_add_u32 s48, s8, s2
	s_addc_u32 s49, s9, s3
	s_add_u32 s46, s12, s2
	s_addc_u32 s47, s13, s3
	s_lshl_b64 s[2:3], s[40:41], 3
	s_add_u32 s2, s20, s2
	v_addc_co_u32_e32 v2, vcc, v2, v3, vcc
	s_addc_u32 s3, s21, s3
	v_mov_b32_e32 v3, s3
	v_add_co_u32_e32 v24, vcc, s2, v1
	v_addc_co_u32_e32 v25, vcc, v3, v2, vcc
	v_add_co_u32_e32 v26, vcc, 4, v24
	v_addc_co_u32_e32 v27, vcc, 0, v25, vcc
	s_mul_hi_i32 s3, s24, s58
	s_mul_i32 s2, s24, s58
	v_mov_b32_e32 v3, s21
	v_add_co_u32_e32 v4, vcc, s20, v1
	s_lshl_b64 s[68:69], s[2:3], 3
	s_add_i32 s44, s19, 1
	s_lshl_b64 s[2:3], s[50:51], 3
	v_addc_co_u32_e32 v3, vcc, v3, v2, vcc
	s_add_u32 s2, s20, s2
	v_add_co_u32_e32 v28, vcc, 4, v4
	s_addc_u32 s3, s21, s3
	v_addc_co_u32_e32 v29, vcc, 0, v3, vcc
	v_mov_b32_e32 v5, s3
	v_add_co_u32_e32 v1, vcc, s2, v1
	v_addc_co_u32_e32 v2, vcc, v5, v2, vcc
	v_add_co_u32_e32 v30, vcc, 4, v1
	v_addc_co_u32_e32 v31, vcc, 0, v2, vcc
	v_add_co_u32_e32 v32, vcc, 8, v4
	v_addc_co_u32_e32 v33, vcc, 0, v3, vcc
	v_add_co_u32_e32 v34, vcc, 12, v4
	v_addc_co_u32_e32 v35, vcc, 0, v3, vcc
	s_mul_hi_i32 s67, s24, s91
	s_mov_b32 s54, s19
	v_mov_b32_e32 v36, 0
	v_cmp_gt_i32_e64 s[2:3], s90, v0
	s_branch .LBB2_4
.LBB2_2:                                ;   in Loop: Header=BB2_4 Depth=1
	s_or_b64 exec, exec, s[72:73]
.LBB2_3:                                ;   in Loop: Header=BB2_4 Depth=1
	s_add_i32 s7, s7, s26
	s_cmp_ge_u32 s7, s33
	s_cbranch_scc1 .LBB2_108
.LBB2_4:                                ; =>This Loop Header: Depth=1
                                        ;     Child Loop BB2_19 Depth 2
                                        ;       Child Loop BB2_20 Depth 3
                                        ;     Child Loop BB2_26 Depth 2
                                        ;       Child Loop BB2_27 Depth 3
	;; [unrolled: 2-line block ×12, first 2 shown]
	s_mul_i32 s18, s15, s7
	s_mul_hi_u32 s20, s14, s7
	s_add_i32 s40, s20, s18
	s_mul_i32 s41, s14, s7
	s_add_u32 s20, s12, s41
	s_mul_i32 s18, s11, s7
	s_mul_hi_u32 s42, s10, s7
	s_addc_u32 s21, s13, s40
	s_add_i32 s78, s42, s18
	s_mul_i32 s79, s10, s7
	s_add_u32 s70, s8, s79
	s_mul_i32 s18, s61, s7
	s_mul_hi_u32 s42, s60, s7
	s_addc_u32 s71, s9, s78
	s_add_i32 s42, s42, s18
	s_mul_i32 s18, s5, s7
	s_mul_hi_u32 s45, s4, s7
	s_add_i32 s73, s45, s18
	s_mul_i32 s72, s4, s7
	s_lshl_b64 s[72:73], s[72:73], 3
	s_add_u32 s45, s6, s72
	s_mul_i32 s43, s60, s7
	s_addc_u32 s51, s27, s73
	s_and_b64 vcc, exec, s[16:17]
	s_mov_b64 s[72:73], -1
	s_cbranch_vccnz .LBB2_6
; %bb.5:                                ;   in Loop: Header=BB2_4 Depth=1
	s_andn2_b64 vcc, exec, s[72:73]
	s_cbranch_vccnz .LBB2_3
	s_branch .LBB2_103
.LBB2_6:                                ;   in Loop: Header=BB2_4 Depth=1
	s_add_u32 s72, s48, s79
	s_addc_u32 s73, s49, s78
	s_add_u32 s74, s46, s41
	s_addc_u32 s75, s47, s40
	s_mov_b64 s[76:77], -1
	s_and_b64 vcc, exec, s[22:23]
	s_cbranch_vccz .LBB2_95
; %bb.7:                                ;   in Loop: Header=BB2_4 Depth=1
	s_and_b64 vcc, exec, s[28:29]
	s_cbranch_vccz .LBB2_87
; %bb.8:                                ;   in Loop: Header=BB2_4 Depth=1
	;; [unrolled: 3-line block ×3, first 2 shown]
	s_and_b64 vcc, exec, s[34:35]
	s_cbranch_vccz .LBB2_71
; %bb.10:                               ;   in Loop: Header=BB2_4 Depth=1
	s_and_b64 vcc, exec, s[36:37]
	s_cbranch_vccz .LBB2_63
; %bb.11:                               ;   in Loop: Header=BB2_4 Depth=1
	v_mov_b32_e32 v2, s42
	v_add_co_u32_e32 v1, vcc, s43, v18
	v_addc_co_u32_e32 v2, vcc, v19, v2, vcc
	s_and_b64 vcc, exec, s[38:39]
	s_cbranch_vccz .LBB2_55
; %bb.12:                               ;   in Loop: Header=BB2_4 Depth=1
	v_readlane_b32 s18, v46, 10
	s_add_u32 s76, s18, s79
	s_addc_u32 s77, s92, s78
	s_add_u32 s78, s93, s41
	v_mov_b32_e32 v4, s42
	v_add_co_u32_e32 v3, vcc, s43, v20
	s_addc_u32 s79, s94, s40
	v_readlane_b32 s40, v46, 0
	v_addc_co_u32_e32 v4, vcc, v21, v4, vcc
	v_readlane_b32 s41, v46, 1
	s_mov_b64 s[80:81], -1
	s_and_b64 vcc, exec, s[40:41]
	s_cbranch_vccz .LBB2_46
; %bb.13:                               ;   in Loop: Header=BB2_4 Depth=1
	v_readlane_b32 s40, v46, 2
	v_readlane_b32 s41, v46, 3
	s_and_b64 vcc, exec, s[40:41]
	s_cbranch_vccz .LBB2_38
; %bb.14:                               ;   in Loop: Header=BB2_4 Depth=1
	v_readlane_b32 s40, v46, 4
	v_readlane_b32 s41, v46, 5
	;; [unrolled: 5-line block ×3, first 2 shown]
	s_and_b64 vcc, exec, s[40:41]
	s_cbranch_vccz .LBB2_22
; %bb.16:                               ;   in Loop: Header=BB2_4 Depth=1
	s_mov_b64 s[80:81], exec
	v_readlane_b32 s40, v46, 8
	v_readlane_b32 s41, v46, 9
	s_and_b64 s[40:41], s[80:81], s[40:41]
	s_mov_b64 exec, s[40:41]
	s_cbranch_execz .LBB2_21
; %bb.17:                               ;   in Loop: Header=BB2_4 Depth=1
	s_lshl_b64 s[40:41], s[66:67], 3
	v_mov_b32_e32 v6, s42
	v_add_co_u32_e32 v5, vcc, s43, v16
	s_add_u32 s40, s45, s40
	v_addc_co_u32_e32 v6, vcc, v17, v6, vcc
	s_addc_u32 s41, s51, s41
	s_mov_b64 s[82:83], 0
	v_mov_b32_e32 v7, v0
	s_branch .LBB2_19
.LBB2_18:                               ;   in Loop: Header=BB2_19 Depth=2
	v_add_u32_e32 v7, s58, v7
	v_cmp_le_i32_e32 vcc, s19, v7
	s_waitcnt vmcnt(0)
	global_store_dwordx2 v[8:9], v[10:11], off
	v_mov_b32_e32 v8, s63
	s_or_b64 s[82:83], vcc, s[82:83]
	v_add_co_u32_e32 v5, vcc, s62, v5
	v_addc_co_u32_e32 v6, vcc, v6, v8, vcc
	s_andn2_b64 exec, exec, s[82:83]
	s_cbranch_execz .LBB2_21
.LBB2_19:                               ;   Parent Loop BB2_4 Depth=1
                                        ; =>  This Loop Header: Depth=2
                                        ;       Child Loop BB2_20 Depth 3
	v_ashrrev_i32_e32 v8, 31, v7
	v_lshlrev_b64 v[8:9], 3, v[7:8]
	v_mov_b32_e32 v10, s41
	v_add_co_u32_e32 v8, vcc, s40, v8
	v_addc_co_u32_e32 v9, vcc, v10, v9, vcc
	global_load_dwordx2 v[10:11], v[8:9], off
	v_mov_b32_e32 v13, v6
	s_andn2_b64 vcc, exec, s[52:53]
	v_mov_b32_e32 v12, v5
	s_mov_b64 s[84:85], s[78:79]
	s_mov_b64 s[86:87], s[76:77]
	s_mov_b32 s18, s91
	s_cbranch_vccnz .LBB2_18
.LBB2_20:                               ;   Parent Loop BB2_4 Depth=1
                                        ;     Parent Loop BB2_19 Depth=2
                                        ; =>    This Inner Loop Header: Depth=3
	global_load_dwordx2 v[37:38], v[12:13], off offset:-4
	global_load_dword v41, v36, s[86:87]
	global_load_dword v42, v36, s[84:85]
	s_add_i32 s18, s18, -1
	s_add_u32 s86, s86, -4
	s_addc_u32 s87, s87, -1
	s_add_u32 s84, s84, -4
	v_mov_b32_e32 v43, s95
	s_addc_u32 s85, s85, -1
	s_cmp_eq_u32 s18, 0
	s_waitcnt vmcnt(1)
	v_mul_f32_e32 v39, v41, v37
	v_mul_f32_e32 v40, v41, v38
	s_waitcnt vmcnt(0)
	v_fmac_f32_e32 v39, v10, v42
	v_fmac_f32_e32 v40, v11, v42
	v_mul_f32_e32 v37, v42, v37
	v_mul_f32_e32 v38, v42, v38
	global_store_dwordx2 v[12:13], v[39:40], off offset:-4
	v_add_co_u32_e32 v12, vcc, s59, v12
	v_fma_f32 v10, v10, v41, -v37
	v_fma_f32 v11, v11, v41, -v38
	v_addc_co_u32_e32 v13, vcc, v13, v43, vcc
	s_cbranch_scc0 .LBB2_20
	s_branch .LBB2_18
.LBB2_21:                               ;   in Loop: Header=BB2_4 Depth=1
	s_or_b64 exec, exec, s[80:81]
	s_mov_b64 s[80:81], 0
.LBB2_22:                               ;   in Loop: Header=BB2_4 Depth=1
	s_andn2_b64 vcc, exec, s[80:81]
	s_cbranch_vccnz .LBB2_29
; %bb.23:                               ;   in Loop: Header=BB2_4 Depth=1
	s_and_saveexec_b64 s[80:81], s[0:1]
	s_cbranch_execz .LBB2_28
; %bb.24:                               ;   in Loop: Header=BB2_4 Depth=1
	s_lshl_b64 s[40:41], s[66:67], 3
	s_add_u32 s40, s45, s40
	v_mov_b32_e32 v6, v2
	s_addc_u32 s41, s51, s41
	s_mov_b64 s[82:83], 0
	v_mov_b32_e32 v5, v1
	v_mov_b32_e32 v7, v0
	s_branch .LBB2_26
.LBB2_25:                               ;   in Loop: Header=BB2_26 Depth=2
	v_add_u32_e32 v7, s58, v7
	v_cmp_le_i32_e32 vcc, s19, v7
	s_waitcnt vmcnt(0)
	global_store_dwordx2 v[8:9], v[10:11], off
	v_mov_b32_e32 v8, s63
	s_or_b64 s[82:83], vcc, s[82:83]
	v_add_co_u32_e32 v5, vcc, s62, v5
	v_addc_co_u32_e32 v6, vcc, v6, v8, vcc
	s_andn2_b64 exec, exec, s[82:83]
	s_cbranch_execz .LBB2_28
.LBB2_26:                               ;   Parent Loop BB2_4 Depth=1
                                        ; =>  This Loop Header: Depth=2
                                        ;       Child Loop BB2_27 Depth 3
	v_ashrrev_i32_e32 v8, 31, v7
	v_lshlrev_b64 v[8:9], 3, v[7:8]
	v_mov_b32_e32 v10, s41
	v_add_co_u32_e32 v8, vcc, s40, v8
	v_addc_co_u32_e32 v9, vcc, v10, v9, vcc
	global_load_dwordx2 v[10:11], v[8:9], off
	v_mov_b32_e32 v13, v6
	s_andn2_b64 vcc, exec, s[52:53]
	v_mov_b32_e32 v12, v5
	s_mov_b64 s[84:85], s[20:21]
	s_mov_b64 s[86:87], s[70:71]
	s_mov_b32 s18, s91
	s_cbranch_vccnz .LBB2_25
.LBB2_27:                               ;   Parent Loop BB2_4 Depth=1
                                        ;     Parent Loop BB2_26 Depth=2
                                        ; =>    This Inner Loop Header: Depth=3
	global_load_dwordx2 v[37:38], v[12:13], off offset:-4
	global_load_dword v41, v36, s[86:87]
	global_load_dword v42, v36, s[84:85]
	s_add_i32 s18, s18, -1
	s_add_u32 s86, s86, 4
	s_addc_u32 s87, s87, 0
	s_add_u32 s84, s84, 4
	v_mov_b32_e32 v43, s65
	s_addc_u32 s85, s85, 0
	s_cmp_eq_u32 s18, 0
	s_waitcnt vmcnt(1)
	v_mul_f32_e32 v39, v41, v37
	v_mul_f32_e32 v40, v41, v38
	s_waitcnt vmcnt(0)
	v_fmac_f32_e32 v39, v10, v42
	v_fmac_f32_e32 v40, v11, v42
	v_mul_f32_e32 v37, v42, v37
	v_mul_f32_e32 v38, v42, v38
	global_store_dwordx2 v[12:13], v[39:40], off offset:-4
	v_add_co_u32_e32 v12, vcc, s64, v12
	v_fma_f32 v10, v10, v41, -v37
	v_fma_f32 v11, v11, v41, -v38
	v_addc_co_u32_e32 v13, vcc, v13, v43, vcc
	s_cbranch_scc0 .LBB2_27
	s_branch .LBB2_25
.LBB2_28:                               ;   in Loop: Header=BB2_4 Depth=1
	s_or_b64 exec, exec, s[80:81]
.LBB2_29:                               ;   in Loop: Header=BB2_4 Depth=1
	s_mov_b64 s[80:81], 0
.LBB2_30:                               ;   in Loop: Header=BB2_4 Depth=1
	s_andn2_b64 vcc, exec, s[80:81]
	s_cbranch_vccnz .LBB2_37
; %bb.31:                               ;   in Loop: Header=BB2_4 Depth=1
	s_and_saveexec_b64 s[80:81], s[0:1]
	s_cbranch_execz .LBB2_36
; %bb.32:                               ;   in Loop: Header=BB2_4 Depth=1
	v_mov_b32_e32 v6, v4
	s_mov_b64 s[82:83], 0
	v_mov_b32_e32 v5, v3
	v_mov_b32_e32 v7, v0
	s_branch .LBB2_34
.LBB2_33:                               ;   in Loop: Header=BB2_34 Depth=2
	v_add_u32_e32 v7, s58, v7
	v_cmp_le_i32_e32 vcc, s19, v7
	s_waitcnt vmcnt(0)
	global_store_dwordx2 v[8:9], v[12:13], off
	v_mov_b32_e32 v8, s63
	s_or_b64 s[82:83], vcc, s[82:83]
	v_add_co_u32_e32 v5, vcc, s62, v5
	v_addc_co_u32_e32 v6, vcc, v6, v8, vcc
	s_andn2_b64 exec, exec, s[82:83]
	s_cbranch_execz .LBB2_36
.LBB2_34:                               ;   Parent Loop BB2_4 Depth=1
                                        ; =>  This Loop Header: Depth=2
                                        ;       Child Loop BB2_35 Depth 3
	v_ashrrev_i32_e32 v8, 31, v7
	v_lshlrev_b64 v[8:9], 3, v[7:8]
	v_mov_b32_e32 v10, s51
	v_add_co_u32_e32 v8, vcc, s45, v8
	v_addc_co_u32_e32 v9, vcc, v10, v9, vcc
	global_load_dwordx2 v[12:13], v[8:9], off
	v_mov_b32_e32 v11, v6
	s_andn2_b64 vcc, exec, s[52:53]
	v_mov_b32_e32 v10, v5
	s_mov_b64 s[84:85], s[78:79]
	s_mov_b64 s[86:87], s[76:77]
	s_mov_b32 s18, s25
	s_cbranch_vccnz .LBB2_33
.LBB2_35:                               ;   Parent Loop BB2_4 Depth=1
                                        ;     Parent Loop BB2_34 Depth=2
                                        ; =>    This Inner Loop Header: Depth=3
	global_load_dword v39, v36, s[84:85]
	global_load_dwordx2 v[37:38], v[10:11], off offset:-4
	global_load_dword v40, v36, s[86:87]
	s_add_i32 s18, s18, -1
	s_waitcnt vmcnt(3)
	v_mov_b32_e32 v41, v13
	v_mov_b32_e32 v42, v12
	s_add_u32 s86, s86, -4
	s_addc_u32 s87, s87, -1
	s_add_u32 s84, s84, -4
	v_mov_b32_e32 v43, s95
	s_addc_u32 s85, s85, -1
	s_cmp_lt_u32 s18, 3
	s_waitcnt vmcnt(2)
	v_mul_f32_e32 v44, v42, v39
	v_mul_f32_e32 v45, v41, v39
	s_waitcnt vmcnt(1)
	v_mul_f32_e32 v12, v39, v37
	v_mul_f32_e32 v13, v39, v38
	s_waitcnt vmcnt(0)
	v_fma_f32 v37, v40, v37, -v44
	v_fma_f32 v38, v40, v38, -v45
	global_store_dwordx2 v[10:11], v[37:38], off offset:-4
	v_add_co_u32_e32 v10, vcc, s59, v10
	v_fmac_f32_e32 v12, v42, v40
	v_fmac_f32_e32 v13, v41, v40
	v_addc_co_u32_e32 v11, vcc, v11, v43, vcc
	s_cbranch_scc0 .LBB2_35
	s_branch .LBB2_33
.LBB2_36:                               ;   in Loop: Header=BB2_4 Depth=1
	s_or_b64 exec, exec, s[80:81]
.LBB2_37:                               ;   in Loop: Header=BB2_4 Depth=1
	s_mov_b64 s[80:81], 0
.LBB2_38:                               ;   in Loop: Header=BB2_4 Depth=1
	s_andn2_b64 vcc, exec, s[80:81]
	s_cbranch_vccnz .LBB2_45
; %bb.39:                               ;   in Loop: Header=BB2_4 Depth=1
	s_and_saveexec_b64 s[80:81], s[0:1]
	s_cbranch_execz .LBB2_44
; %bb.40:                               ;   in Loop: Header=BB2_4 Depth=1
	v_mov_b32_e32 v6, s42
	v_add_co_u32_e32 v5, vcc, s43, v22
	v_addc_co_u32_e32 v6, vcc, v23, v6, vcc
	s_mov_b64 s[82:83], 0
	v_mov_b32_e32 v7, v0
	s_branch .LBB2_42
.LBB2_41:                               ;   in Loop: Header=BB2_42 Depth=2
	v_add_u32_e32 v7, s58, v7
	v_cmp_le_i32_e32 vcc, s19, v7
	s_waitcnt vmcnt(0)
	global_store_dwordx2 v[8:9], v[12:13], off
	v_mov_b32_e32 v8, s63
	s_or_b64 s[82:83], vcc, s[82:83]
	v_add_co_u32_e32 v5, vcc, s62, v5
	v_addc_co_u32_e32 v6, vcc, v6, v8, vcc
	s_andn2_b64 exec, exec, s[82:83]
	s_cbranch_execz .LBB2_44
.LBB2_42:                               ;   Parent Loop BB2_4 Depth=1
                                        ; =>  This Loop Header: Depth=2
                                        ;       Child Loop BB2_43 Depth 3
	v_ashrrev_i32_e32 v8, 31, v7
	v_lshlrev_b64 v[8:9], 3, v[7:8]
	v_mov_b32_e32 v10, s51
	v_add_co_u32_e32 v8, vcc, s45, v8
	v_addc_co_u32_e32 v9, vcc, v10, v9, vcc
	global_load_dwordx2 v[12:13], v[8:9], off
	v_mov_b32_e32 v11, v6
	s_andn2_b64 vcc, exec, s[52:53]
	v_mov_b32_e32 v10, v5
	s_mov_b32 s18, s91
	s_mov_b64 s[84:85], s[70:71]
	s_mov_b64 s[86:87], s[20:21]
	s_cbranch_vccnz .LBB2_41
.LBB2_43:                               ;   Parent Loop BB2_4 Depth=1
                                        ;     Parent Loop BB2_42 Depth=2
                                        ; =>    This Inner Loop Header: Depth=3
	global_load_dword v39, v36, s[86:87]
	global_load_dwordx2 v[37:38], v[10:11], off offset:-4
	global_load_dword v40, v36, s[84:85]
	s_waitcnt vmcnt(3)
	v_mov_b32_e32 v41, v13
	v_mov_b32_e32 v42, v12
	s_add_u32 s86, s86, 4
	s_addc_u32 s87, s87, 0
	s_add_u32 s84, s84, 4
	v_mov_b32_e32 v43, s65
	s_addc_u32 s85, s85, 0
	s_add_i32 s18, s18, -1
	s_cmp_eq_u32 s18, 0
	s_waitcnt vmcnt(2)
	v_mul_f32_e32 v44, v42, v39
	v_mul_f32_e32 v45, v41, v39
	s_waitcnt vmcnt(1)
	v_mul_f32_e32 v12, v39, v37
	v_mul_f32_e32 v13, v39, v38
	s_waitcnt vmcnt(0)
	v_fma_f32 v37, v40, v37, -v44
	v_fma_f32 v38, v40, v38, -v45
	global_store_dwordx2 v[10:11], v[37:38], off offset:-4
	v_add_co_u32_e32 v10, vcc, s64, v10
	v_fmac_f32_e32 v12, v42, v40
	v_fmac_f32_e32 v13, v41, v40
	v_addc_co_u32_e32 v11, vcc, v11, v43, vcc
	s_cbranch_scc0 .LBB2_43
	s_branch .LBB2_41
.LBB2_44:                               ;   in Loop: Header=BB2_4 Depth=1
	s_or_b64 exec, exec, s[80:81]
.LBB2_45:                               ;   in Loop: Header=BB2_4 Depth=1
	s_mov_b64 s[80:81], 0
.LBB2_46:                               ;   in Loop: Header=BB2_4 Depth=1
	s_andn2_b64 vcc, exec, s[80:81]
	s_cbranch_vccnz .LBB2_54
; %bb.47:                               ;   in Loop: Header=BB2_4 Depth=1
	s_and_saveexec_b64 s[80:81], s[0:1]
	s_cbranch_execz .LBB2_53
; %bb.48:                               ;   in Loop: Header=BB2_4 Depth=1
	s_lshl_b64 s[40:41], s[66:67], 3
	v_mov_b32_e32 v5, s42
	v_add_co_u32_e32 v10, vcc, s43, v14
	s_add_u32 s40, s45, s40
	v_addc_co_u32_e32 v11, vcc, v15, v5, vcc
	s_addc_u32 s41, s51, s41
	s_mov_b64 s[82:83], 0
	v_mov_b32_e32 v5, v0
	s_branch .LBB2_50
.LBB2_49:                               ;   in Loop: Header=BB2_50 Depth=2
	v_mov_b32_e32 v12, s51
	v_add_co_u32_e32 v6, vcc, s45, v6
	v_addc_co_u32_e32 v7, vcc, v12, v7, vcc
	s_waitcnt vmcnt(0)
	global_store_dwordx2 v[6:7], v[8:9], off
	v_mov_b32_e32 v6, s63
	v_add_co_u32_e32 v10, vcc, s62, v10
	v_add_u32_e32 v5, s58, v5
	v_addc_co_u32_e32 v11, vcc, v11, v6, vcc
	v_cmp_le_i32_e32 vcc, s19, v5
	s_or_b64 s[82:83], vcc, s[82:83]
	v_add_co_u32_e32 v3, vcc, s62, v3
	v_addc_co_u32_e32 v4, vcc, v4, v6, vcc
	s_andn2_b64 exec, exec, s[82:83]
	s_cbranch_execz .LBB2_53
.LBB2_50:                               ;   Parent Loop BB2_4 Depth=1
                                        ; =>  This Loop Header: Depth=2
                                        ;       Child Loop BB2_52 Depth 3
	v_ashrrev_i32_e32 v6, 31, v5
	v_lshlrev_b64 v[6:7], 3, v[5:6]
	v_mov_b32_e32 v9, s41
	v_add_co_u32_e32 v8, vcc, s40, v6
	v_addc_co_u32_e32 v9, vcc, v9, v7, vcc
	global_load_dwordx2 v[8:9], v[8:9], off
	s_andn2_b64 vcc, exec, s[52:53]
	s_cbranch_vccnz .LBB2_49
; %bb.51:                               ;   in Loop: Header=BB2_50 Depth=2
	s_mov_b64 s[84:85], 0
	s_mov_b64 s[86:87], s[78:79]
	;; [unrolled: 1-line block ×3, first 2 shown]
	s_mov_b32 s18, s91
.LBB2_52:                               ;   Parent Loop BB2_4 Depth=1
                                        ;     Parent Loop BB2_50 Depth=2
                                        ; =>    This Inner Loop Header: Depth=3
	v_mov_b32_e32 v38, s85
	v_add_co_u32_e32 v12, vcc, s84, v10
	v_addc_co_u32_e32 v13, vcc, v11, v38, vcc
	global_load_dword v39, v36, s[86:87]
	s_nop 0
	global_load_dwordx2 v[12:13], v[12:13], off
	s_nop 0
	global_load_dword v40, v36, s[88:89]
	s_add_i32 s18, s18, -1
	v_add_co_u32_e32 v37, vcc, s84, v3
	s_sub_u32 s84, s84, s64
	s_subb_u32 s85, s85, s65
	s_add_u32 s88, s88, -4
	s_addc_u32 s89, s89, -1
	s_add_u32 s86, s86, -4
	s_waitcnt vmcnt(3)
	v_mov_b32_e32 v41, v9
	v_mov_b32_e32 v42, v8
	s_addc_u32 s87, s87, -1
	v_addc_co_u32_e32 v38, vcc, v4, v38, vcc
	s_cmp_eq_u32 s18, 0
	s_waitcnt vmcnt(1)
	v_mul_f32_e32 v43, v39, v12
	v_mul_f32_e32 v44, v39, v13
	s_waitcnt vmcnt(0)
	v_mul_f32_e32 v8, v40, v12
	v_mul_f32_e32 v9, v40, v13
	v_fma_f32 v12, v42, v40, -v43
	v_fma_f32 v13, v41, v40, -v44
	v_fmac_f32_e32 v8, v42, v39
	v_fmac_f32_e32 v9, v41, v39
	global_store_dwordx2 v[37:38], v[12:13], off offset:-4
	s_cbranch_scc0 .LBB2_52
	s_branch .LBB2_49
.LBB2_53:                               ;   in Loop: Header=BB2_4 Depth=1
	s_or_b64 exec, exec, s[80:81]
.LBB2_54:                               ;   in Loop: Header=BB2_4 Depth=1
	s_mov_b64 s[76:77], 0
.LBB2_55:                               ;   in Loop: Header=BB2_4 Depth=1
	s_andn2_b64 vcc, exec, s[76:77]
	s_cbranch_vccnz .LBB2_62
; %bb.56:                               ;   in Loop: Header=BB2_4 Depth=1
	s_and_saveexec_b64 s[76:77], s[0:1]
	s_cbranch_execz .LBB2_61
; %bb.57:                               ;   in Loop: Header=BB2_4 Depth=1
	s_lshl_b64 s[40:41], s[66:67], 3
	s_add_u32 s40, s45, s40
	s_addc_u32 s41, s51, s41
	s_mov_b64 s[78:79], 0
	v_mov_b32_e32 v3, v0
	s_branch .LBB2_59
.LBB2_58:                               ;   in Loop: Header=BB2_59 Depth=2
	v_mov_b32_e32 v8, s41
	v_add_co_u32_e32 v4, vcc, s40, v4
	v_addc_co_u32_e32 v5, vcc, v8, v5, vcc
	v_add_u32_e32 v3, s58, v3
	v_cmp_le_i32_e32 vcc, s19, v3
	s_waitcnt vmcnt(0)
	global_store_dwordx2 v[4:5], v[6:7], off
	v_mov_b32_e32 v4, s63
	s_or_b64 s[78:79], vcc, s[78:79]
	v_add_co_u32_e32 v1, vcc, s62, v1
	v_addc_co_u32_e32 v2, vcc, v2, v4, vcc
	s_andn2_b64 exec, exec, s[78:79]
	s_cbranch_execz .LBB2_61
.LBB2_59:                               ;   Parent Loop BB2_4 Depth=1
                                        ; =>  This Loop Header: Depth=2
                                        ;       Child Loop BB2_60 Depth 3
	v_ashrrev_i32_e32 v4, 31, v3
	v_lshlrev_b64 v[4:5], 3, v[3:4]
	v_mov_b32_e32 v7, s51
	v_add_co_u32_e32 v6, vcc, s45, v4
	v_addc_co_u32_e32 v7, vcc, v7, v5, vcc
	global_load_dwordx2 v[6:7], v[6:7], off
	v_mov_b32_e32 v9, v2
	s_andn2_b64 vcc, exec, s[52:53]
	s_mov_b64 s[80:81], s[20:21]
	s_mov_b64 s[82:83], s[70:71]
	v_mov_b32_e32 v8, v1
	s_mov_b32 s18, s91
	s_cbranch_vccnz .LBB2_58
.LBB2_60:                               ;   Parent Loop BB2_4 Depth=1
                                        ;     Parent Loop BB2_59 Depth=2
                                        ; =>    This Inner Loop Header: Depth=3
	v_mov_b32_e32 v11, s65
	v_add_co_u32_e32 v10, vcc, s64, v8
	global_load_dword v38, v36, s[80:81]
	v_addc_co_u32_e32 v11, vcc, v9, v11, vcc
	global_load_dwordx2 v[12:13], v[10:11], off offset:-4
	global_load_dword v39, v36, s[82:83]
	s_add_i32 s18, s18, -1
	s_add_u32 s82, s82, 4
	s_addc_u32 s83, s83, 0
	s_add_u32 s80, s80, 4
	s_addc_u32 s81, s81, 0
	s_cmp_eq_u32 s18, 0
	s_waitcnt vmcnt(2)
	v_mul_f32_e32 v40, v6, v38
	v_mul_f32_e32 v41, v7, v38
	s_waitcnt vmcnt(1)
	v_mul_f32_e32 v37, v38, v12
	v_mul_f32_e32 v38, v38, v13
	s_waitcnt vmcnt(0)
	v_fmac_f32_e32 v37, v6, v39
	v_fmac_f32_e32 v38, v7, v39
	global_store_dwordx2 v[8:9], v[37:38], off offset:-4
	v_mov_b32_e32 v8, v10
	v_fma_f32 v6, v39, v12, -v40
	v_fma_f32 v7, v39, v13, -v41
	v_mov_b32_e32 v9, v11
	s_cbranch_scc0 .LBB2_60
	s_branch .LBB2_58
.LBB2_61:                               ;   in Loop: Header=BB2_4 Depth=1
	s_or_b64 exec, exec, s[76:77]
.LBB2_62:                               ;   in Loop: Header=BB2_4 Depth=1
	s_mov_b64 s[76:77], 0
.LBB2_63:                               ;   in Loop: Header=BB2_4 Depth=1
	s_andn2_b64 vcc, exec, s[76:77]
	s_cbranch_vccnz .LBB2_70
; %bb.64:                               ;   in Loop: Header=BB2_4 Depth=1
	s_and_saveexec_b64 s[76:77], s[2:3]
	s_cbranch_execz .LBB2_69
; %bb.65:                               ;   in Loop: Header=BB2_4 Depth=1
	s_lshl_b64 s[40:41], s[54:55], 3
	v_mov_b32_e32 v2, s42
	v_add_co_u32_e32 v1, vcc, s43, v26
	s_add_u32 s40, s45, s40
	v_addc_co_u32_e32 v2, vcc, v27, v2, vcc
	s_addc_u32 s41, s51, s41
	s_mov_b64 s[78:79], 0
	v_mov_b32_e32 v9, v0
	s_branch .LBB2_67
.LBB2_66:                               ;   in Loop: Header=BB2_67 Depth=2
	v_add_u32_e32 v9, s58, v9
	v_cmp_le_i32_e32 vcc, s90, v9
	s_waitcnt vmcnt(0)
	global_store_dwordx2 v[3:4], v[5:6], off offset:-8
	v_mov_b32_e32 v3, s69
	s_or_b64 s[78:79], vcc, s[78:79]
	v_add_co_u32_e32 v1, vcc, s68, v1
	v_addc_co_u32_e32 v2, vcc, v2, v3, vcc
	s_andn2_b64 exec, exec, s[78:79]
	s_cbranch_execz .LBB2_69
.LBB2_67:                               ;   Parent Loop BB2_4 Depth=1
                                        ; =>  This Loop Header: Depth=2
                                        ;       Child Loop BB2_68 Depth 3
	v_mad_i64_i32 v[3:4], s[80:81], v9, s24, 0
	v_mov_b32_e32 v5, s41
	v_mov_b32_e32 v8, v2
	v_lshlrev_b64 v[3:4], 3, v[3:4]
	v_mov_b32_e32 v7, v1
	v_add_co_u32_e32 v3, vcc, s40, v3
	v_addc_co_u32_e32 v4, vcc, v5, v4, vcc
	global_load_dwordx2 v[5:6], v[3:4], off offset:-8
	s_andn2_b64 vcc, exec, s[56:57]
	s_mov_b64 s[80:81], s[74:75]
	s_mov_b64 s[82:83], s[72:73]
	s_mov_b32 s18, s50
	s_cbranch_vccnz .LBB2_66
.LBB2_68:                               ;   Parent Loop BB2_4 Depth=1
                                        ;     Parent Loop BB2_67 Depth=2
                                        ; =>    This Inner Loop Header: Depth=3
	global_load_dwordx2 v[10:11], v[7:8], off offset:-4
	global_load_dword v37, v36, s[82:83]
	global_load_dword v38, v36, s[80:81]
	s_add_i32 s18, s18, -1
	s_add_u32 s82, s82, -4
	s_addc_u32 s83, s83, -1
	s_add_u32 s80, s80, -4
	s_addc_u32 s81, s81, -1
	s_cmp_eq_u32 s18, 0
	s_waitcnt vmcnt(1)
	v_mul_f32_e32 v12, v37, v10
	v_mul_f32_e32 v13, v37, v11
	s_waitcnt vmcnt(0)
	v_fmac_f32_e32 v12, v5, v38
	v_fmac_f32_e32 v13, v6, v38
	v_mul_f32_e32 v10, v38, v10
	v_mul_f32_e32 v11, v38, v11
	global_store_dwordx2 v[7:8], v[12:13], off offset:-4
	v_add_co_u32_e32 v7, vcc, -8, v7
	v_fma_f32 v5, v5, v37, -v10
	v_fma_f32 v6, v6, v37, -v11
	v_addc_co_u32_e32 v8, vcc, -1, v8, vcc
	s_cbranch_scc0 .LBB2_68
	s_branch .LBB2_66
.LBB2_69:                               ;   in Loop: Header=BB2_4 Depth=1
	s_or_b64 exec, exec, s[76:77]
.LBB2_70:                               ;   in Loop: Header=BB2_4 Depth=1
	s_mov_b64 s[76:77], 0
.LBB2_71:                               ;   in Loop: Header=BB2_4 Depth=1
	s_andn2_b64 vcc, exec, s[76:77]
	s_cbranch_vccnz .LBB2_78
; %bb.72:                               ;   in Loop: Header=BB2_4 Depth=1
	s_and_saveexec_b64 s[76:77], s[2:3]
	s_cbranch_execz .LBB2_77
; %bb.73:                               ;   in Loop: Header=BB2_4 Depth=1
	s_lshl_b64 s[40:41], s[54:55], 3
	v_mov_b32_e32 v2, s42
	v_add_co_u32_e32 v1, vcc, s43, v28
	s_add_u32 s40, s45, s40
	v_addc_co_u32_e32 v2, vcc, v29, v2, vcc
	s_addc_u32 s41, s51, s41
	s_mov_b64 s[78:79], 0
	v_mov_b32_e32 v9, v0
	s_branch .LBB2_75
.LBB2_74:                               ;   in Loop: Header=BB2_75 Depth=2
	v_add_u32_e32 v9, s58, v9
	v_cmp_le_i32_e32 vcc, s90, v9
	s_waitcnt vmcnt(0)
	global_store_dwordx2 v[3:4], v[5:6], off offset:-8
	v_mov_b32_e32 v3, s69
	s_or_b64 s[78:79], vcc, s[78:79]
	v_add_co_u32_e32 v1, vcc, s68, v1
	v_addc_co_u32_e32 v2, vcc, v2, v3, vcc
	s_andn2_b64 exec, exec, s[78:79]
	s_cbranch_execz .LBB2_77
.LBB2_75:                               ;   Parent Loop BB2_4 Depth=1
                                        ; =>  This Loop Header: Depth=2
                                        ;       Child Loop BB2_76 Depth 3
	v_mad_i64_i32 v[3:4], s[80:81], v9, s24, 0
	v_mov_b32_e32 v5, s41
	v_mov_b32_e32 v8, v2
	v_lshlrev_b64 v[3:4], 3, v[3:4]
	v_mov_b32_e32 v7, v1
	v_add_co_u32_e32 v3, vcc, s40, v3
	v_addc_co_u32_e32 v4, vcc, v5, v4, vcc
	global_load_dwordx2 v[5:6], v[3:4], off offset:-8
	s_andn2_b64 vcc, exec, s[56:57]
	s_mov_b64 s[80:81], s[20:21]
	s_mov_b64 s[82:83], s[70:71]
	s_mov_b32 s18, s50
	s_cbranch_vccnz .LBB2_74
.LBB2_76:                               ;   Parent Loop BB2_4 Depth=1
                                        ;     Parent Loop BB2_75 Depth=2
                                        ; =>    This Inner Loop Header: Depth=3
	global_load_dwordx2 v[10:11], v[7:8], off offset:-4
	global_load_dword v37, v36, s[82:83]
	global_load_dword v38, v36, s[80:81]
	s_add_i32 s18, s18, -1
	s_add_u32 s82, s82, 4
	s_addc_u32 s83, s83, 0
	s_add_u32 s80, s80, 4
	s_addc_u32 s81, s81, 0
	s_cmp_eq_u32 s18, 0
	s_waitcnt vmcnt(1)
	v_mul_f32_e32 v12, v37, v10
	v_mul_f32_e32 v13, v37, v11
	s_waitcnt vmcnt(0)
	v_fmac_f32_e32 v12, v5, v38
	v_fmac_f32_e32 v13, v6, v38
	v_mul_f32_e32 v10, v38, v10
	v_mul_f32_e32 v11, v38, v11
	global_store_dwordx2 v[7:8], v[12:13], off offset:-4
	v_add_co_u32_e32 v7, vcc, 8, v7
	v_fma_f32 v5, v5, v37, -v10
	v_fma_f32 v6, v6, v37, -v11
	v_addc_co_u32_e32 v8, vcc, 0, v8, vcc
	s_cbranch_scc0 .LBB2_76
	s_branch .LBB2_74
.LBB2_77:                               ;   in Loop: Header=BB2_4 Depth=1
	s_or_b64 exec, exec, s[76:77]
.LBB2_78:                               ;   in Loop: Header=BB2_4 Depth=1
	s_mov_b64 s[76:77], 0
.LBB2_79:                               ;   in Loop: Header=BB2_4 Depth=1
	s_andn2_b64 vcc, exec, s[76:77]
	s_cbranch_vccnz .LBB2_86
; %bb.80:                               ;   in Loop: Header=BB2_4 Depth=1
	s_and_saveexec_b64 s[76:77], s[2:3]
	s_cbranch_execz .LBB2_85
; %bb.81:                               ;   in Loop: Header=BB2_4 Depth=1
	v_mov_b32_e32 v2, s42
	v_add_co_u32_e32 v1, vcc, s43, v30
	v_addc_co_u32_e32 v2, vcc, v31, v2, vcc
	s_mov_b64 s[78:79], 0
	v_mov_b32_e32 v9, v0
	s_branch .LBB2_83
.LBB2_82:                               ;   in Loop: Header=BB2_83 Depth=2
	v_add_u32_e32 v9, s58, v9
	v_cmp_le_i32_e32 vcc, s90, v9
	s_waitcnt vmcnt(0)
	global_store_dwordx2 v[3:4], v[5:6], off
	v_mov_b32_e32 v3, s69
	s_or_b64 s[78:79], vcc, s[78:79]
	v_add_co_u32_e32 v1, vcc, s68, v1
	v_addc_co_u32_e32 v2, vcc, v2, v3, vcc
	s_andn2_b64 exec, exec, s[78:79]
	s_cbranch_execz .LBB2_85
.LBB2_83:                               ;   Parent Loop BB2_4 Depth=1
                                        ; =>  This Loop Header: Depth=2
                                        ;       Child Loop BB2_84 Depth 3
	v_mad_i64_i32 v[3:4], s[40:41], v9, s24, 0
	v_mov_b32_e32 v5, s51
	v_mov_b32_e32 v8, v2
	v_lshlrev_b64 v[3:4], 3, v[3:4]
	v_mov_b32_e32 v7, v1
	v_add_co_u32_e32 v3, vcc, s45, v3
	v_addc_co_u32_e32 v4, vcc, v5, v4, vcc
	global_load_dwordx2 v[5:6], v[3:4], off
	s_andn2_b64 vcc, exec, s[56:57]
	s_mov_b64 s[80:81], s[74:75]
	s_mov_b64 s[82:83], s[72:73]
	s_mov_b32 s40, s44
	s_cbranch_vccnz .LBB2_82
.LBB2_84:                               ;   Parent Loop BB2_4 Depth=1
                                        ;     Parent Loop BB2_83 Depth=2
                                        ; =>    This Inner Loop Header: Depth=3
	global_load_dword v13, v36, s[82:83]
	global_load_dword v37, v36, s[80:81]
	global_load_dwordx2 v[10:11], v[7:8], off offset:-4
	s_add_i32 s40, s40, -1
	s_waitcnt vmcnt(3)
	v_mov_b32_e32 v12, v6
	v_mov_b32_e32 v38, v5
	s_add_u32 s82, s82, -4
	s_addc_u32 s83, s83, -1
	s_add_u32 s80, s80, -4
	s_addc_u32 s81, s81, -1
	s_cmp_lt_u32 s40, 3
	s_waitcnt vmcnt(1)
	v_mul_f32_e32 v5, v38, v37
	v_mul_f32_e32 v6, v12, v37
	s_waitcnt vmcnt(0)
	v_fma_f32 v5, v13, v10, -v5
	v_fma_f32 v6, v13, v11, -v6
	global_store_dwordx2 v[7:8], v[5:6], off offset:-4
	v_mul_f32_e32 v5, v37, v10
	v_mul_f32_e32 v6, v37, v11
	v_add_co_u32_e32 v7, vcc, -8, v7
	v_fmac_f32_e32 v5, v38, v13
	v_fmac_f32_e32 v6, v12, v13
	v_addc_co_u32_e32 v8, vcc, -1, v8, vcc
	s_cbranch_scc0 .LBB2_84
	s_branch .LBB2_82
.LBB2_85:                               ;   in Loop: Header=BB2_4 Depth=1
	s_or_b64 exec, exec, s[76:77]
.LBB2_86:                               ;   in Loop: Header=BB2_4 Depth=1
	s_mov_b64 s[76:77], 0
.LBB2_87:                               ;   in Loop: Header=BB2_4 Depth=1
	s_andn2_b64 vcc, exec, s[76:77]
	s_cbranch_vccnz .LBB2_94
; %bb.88:                               ;   in Loop: Header=BB2_4 Depth=1
	s_and_saveexec_b64 s[76:77], s[2:3]
	s_cbranch_execz .LBB2_93
; %bb.89:                               ;   in Loop: Header=BB2_4 Depth=1
	v_mov_b32_e32 v2, s42
	v_add_co_u32_e32 v1, vcc, s43, v32
	v_addc_co_u32_e32 v2, vcc, v33, v2, vcc
	s_mov_b64 s[78:79], 0
	v_mov_b32_e32 v9, v0
	s_branch .LBB2_91
.LBB2_90:                               ;   in Loop: Header=BB2_91 Depth=2
	v_add_u32_e32 v9, s58, v9
	v_cmp_le_i32_e32 vcc, s90, v9
	s_waitcnt vmcnt(0)
	global_store_dwordx2 v[3:4], v[5:6], off
	v_mov_b32_e32 v3, s69
	s_or_b64 s[78:79], vcc, s[78:79]
	v_add_co_u32_e32 v1, vcc, s68, v1
	v_addc_co_u32_e32 v2, vcc, v2, v3, vcc
	s_andn2_b64 exec, exec, s[78:79]
	s_cbranch_execz .LBB2_93
.LBB2_91:                               ;   Parent Loop BB2_4 Depth=1
                                        ; =>  This Loop Header: Depth=2
                                        ;       Child Loop BB2_92 Depth 3
	v_mad_i64_i32 v[3:4], s[40:41], v9, s24, 0
	v_mov_b32_e32 v5, s51
	v_mov_b32_e32 v8, v2
	v_lshlrev_b64 v[3:4], 3, v[3:4]
	v_mov_b32_e32 v7, v1
	v_add_co_u32_e32 v3, vcc, s45, v3
	v_addc_co_u32_e32 v4, vcc, v5, v4, vcc
	global_load_dwordx2 v[5:6], v[3:4], off
	s_andn2_b64 vcc, exec, s[56:57]
	s_mov_b32 s40, s50
	s_mov_b64 s[80:81], s[70:71]
	s_mov_b64 s[82:83], s[20:21]
	s_cbranch_vccnz .LBB2_90
.LBB2_92:                               ;   Parent Loop BB2_4 Depth=1
                                        ;     Parent Loop BB2_91 Depth=2
                                        ; =>    This Inner Loop Header: Depth=3
	global_load_dword v13, v36, s[80:81]
	global_load_dword v37, v36, s[82:83]
	global_load_dwordx2 v[10:11], v[7:8], off
	s_waitcnt vmcnt(3)
	v_mov_b32_e32 v12, v6
	v_mov_b32_e32 v38, v5
	s_add_u32 s82, s82, 4
	s_addc_u32 s83, s83, 0
	s_add_u32 s80, s80, 4
	s_addc_u32 s81, s81, 0
	s_add_i32 s40, s40, -1
	s_cmp_eq_u32 s40, 0
	s_waitcnt vmcnt(1)
	v_mul_f32_e32 v5, v38, v37
	v_mul_f32_e32 v6, v12, v37
	s_waitcnt vmcnt(0)
	v_fma_f32 v5, v13, v10, -v5
	v_fma_f32 v6, v13, v11, -v6
	global_store_dwordx2 v[7:8], v[5:6], off
	v_mul_f32_e32 v5, v37, v10
	v_mul_f32_e32 v6, v37, v11
	v_add_co_u32_e32 v7, vcc, 8, v7
	v_fmac_f32_e32 v5, v38, v13
	v_fmac_f32_e32 v6, v12, v13
	v_addc_co_u32_e32 v8, vcc, 0, v8, vcc
	s_cbranch_scc0 .LBB2_92
	s_branch .LBB2_90
.LBB2_93:                               ;   in Loop: Header=BB2_4 Depth=1
	s_or_b64 exec, exec, s[76:77]
.LBB2_94:                               ;   in Loop: Header=BB2_4 Depth=1
	s_mov_b64 s[76:77], 0
.LBB2_95:                               ;   in Loop: Header=BB2_4 Depth=1
	s_andn2_b64 vcc, exec, s[76:77]
	s_cbranch_vccnz .LBB2_102
; %bb.96:                               ;   in Loop: Header=BB2_4 Depth=1
	s_and_saveexec_b64 s[76:77], s[2:3]
	s_cbranch_execz .LBB2_101
; %bb.97:                               ;   in Loop: Header=BB2_4 Depth=1
	s_lshl_b64 s[40:41], s[54:55], 3
	v_mov_b32_e32 v2, s42
	v_add_co_u32_e32 v1, vcc, s43, v24
	s_add_u32 s40, s45, s40
	v_addc_co_u32_e32 v2, vcc, v25, v2, vcc
	s_addc_u32 s41, s51, s41
	s_mov_b64 s[78:79], 0
	v_mov_b32_e32 v9, v0
	s_branch .LBB2_99
.LBB2_98:                               ;   in Loop: Header=BB2_99 Depth=2
	v_mov_b32_e32 v5, s51
	v_add_co_u32_e32 v3, vcc, s45, v3
	v_addc_co_u32_e32 v4, vcc, v5, v4, vcc
	v_add_u32_e32 v9, s58, v9
	v_cmp_le_i32_e32 vcc, s90, v9
	s_waitcnt vmcnt(0)
	global_store_dwordx2 v[3:4], v[7:8], off
	v_mov_b32_e32 v3, s69
	s_or_b64 s[78:79], vcc, s[78:79]
	v_add_co_u32_e32 v1, vcc, s68, v1
	v_addc_co_u32_e32 v2, vcc, v2, v3, vcc
	s_andn2_b64 exec, exec, s[78:79]
	s_cbranch_execz .LBB2_101
.LBB2_99:                               ;   Parent Loop BB2_4 Depth=1
                                        ; =>  This Loop Header: Depth=2
                                        ;       Child Loop BB2_100 Depth 3
	v_mad_i64_i32 v[3:4], s[80:81], v9, s24, 0
	v_mov_b32_e32 v6, s41
	s_mov_b64 s[80:81], s[74:75]
	v_lshlrev_b64 v[3:4], 3, v[3:4]
	s_mov_b64 s[82:83], s[72:73]
	v_add_co_u32_e32 v5, vcc, s40, v3
	v_addc_co_u32_e32 v6, vcc, v6, v4, vcc
	global_load_dwordx2 v[7:8], v[5:6], off offset:-8
	v_mov_b32_e32 v6, v2
	s_andn2_b64 vcc, exec, s[56:57]
	v_mov_b32_e32 v5, v1
	s_mov_b32 s18, s50
	s_cbranch_vccnz .LBB2_98
.LBB2_100:                              ;   Parent Loop BB2_4 Depth=1
                                        ;     Parent Loop BB2_99 Depth=2
                                        ; =>    This Inner Loop Header: Depth=3
	global_load_dwordx2 v[10:11], v[5:6], off
	global_load_dword v12, v36, s[80:81]
	global_load_dword v13, v36, s[82:83]
	s_add_i32 s18, s18, -1
	s_add_u32 s82, s82, -4
	s_waitcnt vmcnt(3)
	v_mov_b32_e32 v37, v8
	v_mov_b32_e32 v38, v7
	s_addc_u32 s83, s83, -1
	s_add_u32 s80, s80, -4
	s_addc_u32 s81, s81, -1
	s_cmp_eq_u32 s18, 0
	s_waitcnt vmcnt(1)
	v_mul_f32_e32 v39, v12, v10
	v_mul_f32_e32 v40, v12, v11
	s_waitcnt vmcnt(0)
	v_mul_f32_e32 v7, v13, v10
	v_mul_f32_e32 v8, v13, v11
	v_fma_f32 v10, v38, v13, -v39
	v_fma_f32 v11, v37, v13, -v40
	global_store_dwordx2 v[5:6], v[10:11], off offset:8
	v_add_co_u32_e32 v5, vcc, -8, v5
	v_fmac_f32_e32 v7, v38, v12
	v_fmac_f32_e32 v8, v37, v12
	v_addc_co_u32_e32 v6, vcc, -1, v6, vcc
	s_cbranch_scc0 .LBB2_100
	s_branch .LBB2_98
.LBB2_101:                              ;   in Loop: Header=BB2_4 Depth=1
	s_or_b64 exec, exec, s[76:77]
.LBB2_102:                              ;   in Loop: Header=BB2_4 Depth=1
	s_cbranch_execnz .LBB2_3
.LBB2_103:                              ;   in Loop: Header=BB2_4 Depth=1
	s_and_saveexec_b64 s[72:73], s[2:3]
	s_cbranch_execz .LBB2_2
; %bb.104:                              ;   in Loop: Header=BB2_4 Depth=1
	s_lshl_b64 s[40:41], s[54:55], 3
	v_mov_b32_e32 v2, s42
	v_add_co_u32_e32 v1, vcc, s43, v34
	s_add_u32 s40, s45, s40
	v_addc_co_u32_e32 v2, vcc, v35, v2, vcc
	s_addc_u32 s41, s51, s41
	s_mov_b64 s[74:75], 0
	v_mov_b32_e32 v9, v0
	s_branch .LBB2_106
.LBB2_105:                              ;   in Loop: Header=BB2_106 Depth=2
	v_mov_b32_e32 v7, s41
	v_add_co_u32_e32 v3, vcc, s40, v3
	v_addc_co_u32_e32 v4, vcc, v7, v4, vcc
	v_add_u32_e32 v9, s58, v9
	v_cmp_le_i32_e32 vcc, s90, v9
	s_waitcnt vmcnt(0)
	global_store_dwordx2 v[3:4], v[5:6], off offset:-8
	v_mov_b32_e32 v3, s69
	s_or_b64 s[74:75], vcc, s[74:75]
	v_add_co_u32_e32 v1, vcc, s68, v1
	v_addc_co_u32_e32 v2, vcc, v2, v3, vcc
	s_andn2_b64 exec, exec, s[74:75]
	s_cbranch_execz .LBB2_2
.LBB2_106:                              ;   Parent Loop BB2_4 Depth=1
                                        ; =>  This Loop Header: Depth=2
                                        ;       Child Loop BB2_107 Depth 3
	v_mad_i64_i32 v[3:4], s[42:43], v9, s24, 0
	v_mov_b32_e32 v6, s51
	v_mov_b32_e32 v8, v2
	v_lshlrev_b64 v[3:4], 3, v[3:4]
	v_mov_b32_e32 v7, v1
	v_add_co_u32_e32 v5, vcc, s45, v3
	v_addc_co_u32_e32 v6, vcc, v6, v4, vcc
	global_load_dwordx2 v[5:6], v[5:6], off
	s_andn2_b64 vcc, exec, s[56:57]
	s_mov_b64 s[76:77], s[70:71]
	s_mov_b64 s[78:79], s[20:21]
	s_mov_b32 s42, s50
	s_cbranch_vccnz .LBB2_105
.LBB2_107:                              ;   Parent Loop BB2_4 Depth=1
                                        ;     Parent Loop BB2_106 Depth=2
                                        ; =>    This Inner Loop Header: Depth=3
	global_load_dword v37, v36, s[76:77]
	global_load_dword v38, v36, s[78:79]
	global_load_dwordx2 v[10:11], v[7:8], off offset:-4
	s_add_i32 s42, s42, -1
	s_add_u32 s78, s78, 4
	s_addc_u32 s79, s79, 0
	s_add_u32 s76, s76, 4
	s_addc_u32 s77, s77, 0
	s_cmp_eq_u32 s42, 0
	s_waitcnt vmcnt(0)
	v_mul_f32_e32 v12, v38, v10
	v_mul_f32_e32 v13, v38, v11
	v_fmac_f32_e32 v12, v5, v37
	v_fmac_f32_e32 v13, v6, v37
	global_store_dwordx2 v[7:8], v[12:13], off offset:-12
	v_mul_f32_e32 v5, v5, v38
	v_mul_f32_e32 v6, v6, v38
	v_add_co_u32_e32 v7, vcc, 8, v7
	v_fma_f32 v5, v37, v10, -v5
	v_fma_f32 v6, v37, v11, -v6
	v_addc_co_u32_e32 v8, vcc, 0, v8, vcc
	s_cbranch_scc0 .LBB2_107
	s_branch .LBB2_105
.LBB2_108:
	s_endpgm
	.section	.rodata,"a",@progbits
	.p2align	6, 0x0
	.amdhsa_kernel _ZN9rocsolver6v33100L11lasr_kernelI19rocblas_complex_numIfEfPS3_iEEv13rocblas_side_14rocblas_pivot_15rocblas_direct_T2_S8_PT0_lSA_lT1_lS8_lS8_
		.amdhsa_group_segment_fixed_size 0
		.amdhsa_private_segment_fixed_size 0
		.amdhsa_kernarg_size 352
		.amdhsa_user_sgpr_count 6
		.amdhsa_user_sgpr_private_segment_buffer 1
		.amdhsa_user_sgpr_dispatch_ptr 0
		.amdhsa_user_sgpr_queue_ptr 0
		.amdhsa_user_sgpr_kernarg_segment_ptr 1
		.amdhsa_user_sgpr_dispatch_id 0
		.amdhsa_user_sgpr_flat_scratch_init 0
		.amdhsa_user_sgpr_private_segment_size 0
		.amdhsa_uses_dynamic_stack 0
		.amdhsa_system_sgpr_private_segment_wavefront_offset 0
		.amdhsa_system_sgpr_workgroup_id_x 1
		.amdhsa_system_sgpr_workgroup_id_y 0
		.amdhsa_system_sgpr_workgroup_id_z 1
		.amdhsa_system_sgpr_workgroup_info 0
		.amdhsa_system_vgpr_workitem_id 0
		.amdhsa_next_free_vgpr 47
		.amdhsa_next_free_sgpr 96
		.amdhsa_reserve_vcc 1
		.amdhsa_reserve_flat_scratch 0
		.amdhsa_float_round_mode_32 0
		.amdhsa_float_round_mode_16_64 0
		.amdhsa_float_denorm_mode_32 3
		.amdhsa_float_denorm_mode_16_64 3
		.amdhsa_dx10_clamp 1
		.amdhsa_ieee_mode 1
		.amdhsa_fp16_overflow 0
		.amdhsa_exception_fp_ieee_invalid_op 0
		.amdhsa_exception_fp_denorm_src 0
		.amdhsa_exception_fp_ieee_div_zero 0
		.amdhsa_exception_fp_ieee_overflow 0
		.amdhsa_exception_fp_ieee_underflow 0
		.amdhsa_exception_fp_ieee_inexact 0
		.amdhsa_exception_int_div_zero 0
	.end_amdhsa_kernel
	.section	.text._ZN9rocsolver6v33100L11lasr_kernelI19rocblas_complex_numIfEfPS3_iEEv13rocblas_side_14rocblas_pivot_15rocblas_direct_T2_S8_PT0_lSA_lT1_lS8_lS8_,"axG",@progbits,_ZN9rocsolver6v33100L11lasr_kernelI19rocblas_complex_numIfEfPS3_iEEv13rocblas_side_14rocblas_pivot_15rocblas_direct_T2_S8_PT0_lSA_lT1_lS8_lS8_,comdat
.Lfunc_end2:
	.size	_ZN9rocsolver6v33100L11lasr_kernelI19rocblas_complex_numIfEfPS3_iEEv13rocblas_side_14rocblas_pivot_15rocblas_direct_T2_S8_PT0_lSA_lT1_lS8_lS8_, .Lfunc_end2-_ZN9rocsolver6v33100L11lasr_kernelI19rocblas_complex_numIfEfPS3_iEEv13rocblas_side_14rocblas_pivot_15rocblas_direct_T2_S8_PT0_lSA_lT1_lS8_lS8_
                                        ; -- End function
	.set _ZN9rocsolver6v33100L11lasr_kernelI19rocblas_complex_numIfEfPS3_iEEv13rocblas_side_14rocblas_pivot_15rocblas_direct_T2_S8_PT0_lSA_lT1_lS8_lS8_.num_vgpr, 47
	.set _ZN9rocsolver6v33100L11lasr_kernelI19rocblas_complex_numIfEfPS3_iEEv13rocblas_side_14rocblas_pivot_15rocblas_direct_T2_S8_PT0_lSA_lT1_lS8_lS8_.num_agpr, 0
	.set _ZN9rocsolver6v33100L11lasr_kernelI19rocblas_complex_numIfEfPS3_iEEv13rocblas_side_14rocblas_pivot_15rocblas_direct_T2_S8_PT0_lSA_lT1_lS8_lS8_.numbered_sgpr, 96
	.set _ZN9rocsolver6v33100L11lasr_kernelI19rocblas_complex_numIfEfPS3_iEEv13rocblas_side_14rocblas_pivot_15rocblas_direct_T2_S8_PT0_lSA_lT1_lS8_lS8_.num_named_barrier, 0
	.set _ZN9rocsolver6v33100L11lasr_kernelI19rocblas_complex_numIfEfPS3_iEEv13rocblas_side_14rocblas_pivot_15rocblas_direct_T2_S8_PT0_lSA_lT1_lS8_lS8_.private_seg_size, 0
	.set _ZN9rocsolver6v33100L11lasr_kernelI19rocblas_complex_numIfEfPS3_iEEv13rocblas_side_14rocblas_pivot_15rocblas_direct_T2_S8_PT0_lSA_lT1_lS8_lS8_.uses_vcc, 1
	.set _ZN9rocsolver6v33100L11lasr_kernelI19rocblas_complex_numIfEfPS3_iEEv13rocblas_side_14rocblas_pivot_15rocblas_direct_T2_S8_PT0_lSA_lT1_lS8_lS8_.uses_flat_scratch, 0
	.set _ZN9rocsolver6v33100L11lasr_kernelI19rocblas_complex_numIfEfPS3_iEEv13rocblas_side_14rocblas_pivot_15rocblas_direct_T2_S8_PT0_lSA_lT1_lS8_lS8_.has_dyn_sized_stack, 0
	.set _ZN9rocsolver6v33100L11lasr_kernelI19rocblas_complex_numIfEfPS3_iEEv13rocblas_side_14rocblas_pivot_15rocblas_direct_T2_S8_PT0_lSA_lT1_lS8_lS8_.has_recursion, 0
	.set _ZN9rocsolver6v33100L11lasr_kernelI19rocblas_complex_numIfEfPS3_iEEv13rocblas_side_14rocblas_pivot_15rocblas_direct_T2_S8_PT0_lSA_lT1_lS8_lS8_.has_indirect_call, 0
	.section	.AMDGPU.csdata,"",@progbits
; Kernel info:
; codeLenInByte = 4780
; TotalNumSgprs: 100
; NumVgprs: 47
; ScratchSize: 0
; MemoryBound: 0
; FloatMode: 240
; IeeeMode: 1
; LDSByteSize: 0 bytes/workgroup (compile time only)
; SGPRBlocks: 12
; VGPRBlocks: 11
; NumSGPRsForWavesPerEU: 100
; NumVGPRsForWavesPerEU: 47
; Occupancy: 5
; WaveLimiterHint : 0
; COMPUTE_PGM_RSRC2:SCRATCH_EN: 0
; COMPUTE_PGM_RSRC2:USER_SGPR: 6
; COMPUTE_PGM_RSRC2:TRAP_HANDLER: 0
; COMPUTE_PGM_RSRC2:TGID_X_EN: 1
; COMPUTE_PGM_RSRC2:TGID_Y_EN: 0
; COMPUTE_PGM_RSRC2:TGID_Z_EN: 1
; COMPUTE_PGM_RSRC2:TIDIG_COMP_CNT: 0
	.section	.text._ZN9rocsolver6v33100L11lasr_kernelI19rocblas_complex_numIdEdPS3_iEEv13rocblas_side_14rocblas_pivot_15rocblas_direct_T2_S8_PT0_lSA_lT1_lS8_lS8_,"axG",@progbits,_ZN9rocsolver6v33100L11lasr_kernelI19rocblas_complex_numIdEdPS3_iEEv13rocblas_side_14rocblas_pivot_15rocblas_direct_T2_S8_PT0_lSA_lT1_lS8_lS8_,comdat
	.globl	_ZN9rocsolver6v33100L11lasr_kernelI19rocblas_complex_numIdEdPS3_iEEv13rocblas_side_14rocblas_pivot_15rocblas_direct_T2_S8_PT0_lSA_lT1_lS8_lS8_ ; -- Begin function _ZN9rocsolver6v33100L11lasr_kernelI19rocblas_complex_numIdEdPS3_iEEv13rocblas_side_14rocblas_pivot_15rocblas_direct_T2_S8_PT0_lSA_lT1_lS8_lS8_
	.p2align	8
	.type	_ZN9rocsolver6v33100L11lasr_kernelI19rocblas_complex_numIdEdPS3_iEEv13rocblas_side_14rocblas_pivot_15rocblas_direct_T2_S8_PT0_lSA_lT1_lS8_lS8_,@function
_ZN9rocsolver6v33100L11lasr_kernelI19rocblas_complex_numIdEdPS3_iEEv13rocblas_side_14rocblas_pivot_15rocblas_direct_T2_S8_PT0_lSA_lT1_lS8_lS8_: ; @_ZN9rocsolver6v33100L11lasr_kernelI19rocblas_complex_numIdEdPS3_iEEv13rocblas_side_14rocblas_pivot_15rocblas_direct_T2_S8_PT0_lSA_lT1_lS8_lS8_
; %bb.0:
	s_load_dword s33, s[4:5], 0x58
	s_waitcnt lgkmcnt(0)
	s_cmp_ge_u32 s7, s33
	s_cbranch_scc1 .LBB3_108
; %bb.1:
	s_load_dword s24, s[4:5], 0x48
	s_load_dwordx2 s[26:27], s[4:5], 0x68
	s_load_dwordx4 s[20:23], s[4:5], 0x38
	s_load_dwordx4 s[16:19], s[4:5], 0x0
	s_load_dword s90, s[4:5], 0x10
	s_waitcnt lgkmcnt(0)
	s_ashr_i32 s25, s24, 31
	s_and_b32 s45, s27, 0xffff
	s_mul_i32 s6, s6, s45
	s_lshl_b64 s[2:3], s[22:23], 4
	v_add_u32_e32 v4, s6, v0
	s_add_u32 s6, s20, s2
	s_addc_u32 s27, s21, s3
	s_cmpk_eq_i32 s16, 0x8d
	s_cselect_b64 s[0:1], -1, 0
	s_cmpk_eq_i32 s16, 0x8e
	s_cselect_b64 s[8:9], -1, 0
	;; [unrolled: 2-line block ×7, first 2 shown]
	s_and_b64 s[22:23], s[0:1], s[10:11]
	s_and_b64 s[30:31], s[0:1], s[14:15]
	;; [unrolled: 1-line block ×5, first 2 shown]
	s_xor_b64 s[36:37], s[0:1], -1
	s_and_b64 s[0:1], s[8:9], s[10:11]
	s_and_b64 s[10:11], s[0:1], s[40:41]
	;; [unrolled: 1-line block ×3, first 2 shown]
	s_xor_b64 s[0:1], s[0:1], -1
                                        ; implicit-def: $vgpr56 : SGPR spill to VGPR lane
	s_xor_b64 s[38:39], s[10:11], -1
	v_writelane_b32 v56, s0, 0
	v_writelane_b32 v56, s1, 1
	s_and_b64 s[0:1], s[8:9], s[14:15]
	s_and_b64 s[10:11], s[0:1], s[40:41]
	s_xor_b64 s[10:11], s[10:11], -1
	v_writelane_b32 v56, s10, 2
	s_and_b64 s[0:1], s[0:1], s[42:43]
	v_writelane_b32 v56, s11, 3
	s_xor_b64 s[0:1], s[0:1], -1
	v_writelane_b32 v56, s0, 4
	s_and_b64 s[8:9], s[8:9], s[12:13]
	v_writelane_b32 v56, s1, 5
	s_and_b64 s[0:1], s[8:9], s[40:41]
	s_xor_b64 s[0:1], s[0:1], -1
	v_writelane_b32 v56, s0, 6
	v_writelane_b32 v56, s1, 7
	v_cmp_gt_i32_e64 s[0:1], s19, v4
	s_and_b64 s[10:11], s[42:43], s[0:1]
	s_and_b64 s[8:9], s[8:9], s[10:11]
	;; [unrolled: 1-line block ×6, first 2 shown]
	v_writelane_b32 v56, s8, 8
	s_xor_b64 s[16:17], s[16:17], -1
	s_xor_b64 s[22:23], s[22:23], -1
	;; [unrolled: 1-line block ×5, first 2 shown]
	v_writelane_b32 v56, s9, 9
	s_add_i32 s91, s90, -1
	s_add_i32 s50, s90, -2
	s_load_dwordx8 s[8:15], s[4:5], 0x18
	s_cmp_gt_i32 s90, 1
	s_cselect_b64 s[52:53], -1, 0
	s_ashr_i32 s55, s19, 31
	s_add_i32 s40, s19, -2
	s_cmp_gt_i32 s19, 1
	s_mov_b32 s51, 0
	s_cselect_b64 s[56:57], -1, 0
	s_lshl_b64 s[42:43], s[50:51], 3
	s_waitcnt lgkmcnt(0)
	s_add_u32 s18, s8, s42
	s_addc_u32 s92, s9, s43
	s_lshl_b64 s[10:11], s[10:11], 3
	s_load_dword s44, s[4:5], 0x60
	v_writelane_b32 v56, s18, 10
	s_add_u32 s93, s12, s42
	s_mul_i32 s18, s25, s50
	s_mul_hi_u32 s41, s24, s50
	s_addc_u32 s94, s13, s43
	s_add_i32 s43, s41, s18
	s_mul_i32 s42, s24, s50
	s_lshl_b64 s[42:43], s[42:43], 4
	s_lshl_b64 s[14:15], s[14:15], 3
	s_load_dwordx2 s[4:5], s[4:5], 0x50
	s_add_u32 s18, s42, s2
	s_addc_u32 s41, s43, s3
	v_ashrrev_i32_e32 v5, 31, v4
	s_add_u32 s18, s20, s18
	v_lshlrev_b64 v[0:1], 4, v[4:5]
	s_waitcnt lgkmcnt(0)
	s_mul_i32 s58, s44, s45
	s_addc_u32 s41, s21, s41
	s_ashr_i32 s59, s58, 31
	v_mov_b32_e32 v2, s41
	v_add_co_u32_e32 v16, vcc, s18, v0
	s_lshl_b64 s[60:61], s[4:5], 4
	s_lshl_b64 s[62:63], s[58:59], 4
	;; [unrolled: 1-line block ×3, first 2 shown]
	v_addc_co_u32_e32 v17, vcc, v2, v1, vcc
	s_sub_u32 s59, 0, s64
	s_mul_i32 s18, s25, s91
	s_mul_hi_u32 s25, s24, s91
	s_mul_i32 s66, s24, s91
	v_add_co_u32_e32 v18, vcc, 8, v16
	s_subb_u32 s95, 0, s65
	s_add_i32 s43, s25, s18
	s_mov_b32 s42, s66
	v_addc_co_u32_e32 v19, vcc, 0, v17, vcc
	s_lshl_b64 s[42:43], s[42:43], 4
	s_add_i32 s25, s90, 1
	v_mov_b32_e32 v2, s27
	v_add_co_u32_e32 v3, vcc, s6, v0
	s_add_u32 s18, s42, s2
	v_addc_co_u32_e32 v2, vcc, v2, v1, vcc
	s_addc_u32 s41, s43, s3
	v_add_co_u32_e32 v20, vcc, 8, v3
	s_add_u32 s18, s20, s18
	v_addc_co_u32_e32 v21, vcc, 0, v2, vcc
	s_addc_u32 s41, s21, s41
	v_mov_b32_e32 v2, s41
	v_add_co_u32_e32 v3, vcc, s18, v0
	s_add_u32 s18, s2, s64
	v_addc_co_u32_e32 v2, vcc, v2, v1, vcc
	s_addc_u32 s41, s3, s65
	v_add_co_u32_e32 v22, vcc, 8, v3
	s_add_u32 s18, s20, s18
	v_addc_co_u32_e32 v23, vcc, 0, v2, vcc
	s_addc_u32 s41, s21, s41
	v_mov_b32_e32 v2, s41
	v_add_co_u32_e32 v3, vcc, s18, v0
	v_addc_co_u32_e32 v2, vcc, v2, v1, vcc
	v_mad_i64_i32 v[0:1], s[42:43], s24, v4, 0
	v_add_co_u32_e32 v24, vcc, 8, v3
	v_lshlrev_b64 v[0:1], 4, v[0:1]
	v_addc_co_u32_e32 v25, vcc, 0, v2, vcc
	s_mov_b32 s41, s51
	v_mov_b32_e32 v2, s3
	v_add_co_u32_e32 v0, vcc, s2, v0
	s_add_i32 s50, s19, -1
	s_lshl_b64 s[2:3], s[40:41], 3
	s_add_u32 s48, s8, s2
	s_addc_u32 s49, s9, s3
	s_add_u32 s46, s12, s2
	s_addc_u32 s47, s13, s3
	s_lshl_b64 s[2:3], s[40:41], 4
	s_add_u32 s2, s20, s2
	v_addc_co_u32_e32 v1, vcc, v1, v2, vcc
	s_addc_u32 s3, s21, s3
	v_mov_b32_e32 v2, s3
	v_add_co_u32_e32 v26, vcc, s2, v0
	v_addc_co_u32_e32 v27, vcc, v2, v1, vcc
	v_add_co_u32_e32 v28, vcc, 8, v26
	v_addc_co_u32_e32 v29, vcc, 0, v27, vcc
	s_mul_hi_i32 s3, s24, s58
	s_mul_i32 s2, s24, s58
	v_mov_b32_e32 v2, s21
	v_add_co_u32_e32 v3, vcc, s20, v0
	s_lshl_b64 s[68:69], s[2:3], 4
	s_add_i32 s44, s19, 1
	s_lshl_b64 s[2:3], s[50:51], 4
	v_addc_co_u32_e32 v2, vcc, v2, v1, vcc
	s_add_u32 s2, s20, s2
	v_add_co_u32_e32 v30, vcc, 8, v3
	s_addc_u32 s3, s21, s3
	v_addc_co_u32_e32 v31, vcc, 0, v2, vcc
	v_mov_b32_e32 v5, s3
	v_add_co_u32_e32 v0, vcc, s2, v0
	v_addc_co_u32_e32 v1, vcc, v5, v1, vcc
	v_add_co_u32_e32 v32, vcc, 8, v0
	v_addc_co_u32_e32 v33, vcc, 0, v1, vcc
	;; [unrolled: 2-line block ×4, first 2 shown]
	s_mul_hi_i32 s67, s24, s91
	s_mov_b32 s54, s19
	v_mov_b32_e32 v38, 0
	v_cmp_gt_i32_e64 s[2:3], s90, v4
	s_branch .LBB3_4
.LBB3_2:                                ;   in Loop: Header=BB3_4 Depth=1
	s_or_b64 exec, exec, s[72:73]
.LBB3_3:                                ;   in Loop: Header=BB3_4 Depth=1
	s_add_i32 s7, s7, s26
	s_cmp_ge_u32 s7, s33
	s_cbranch_scc1 .LBB3_108
.LBB3_4:                                ; =>This Loop Header: Depth=1
                                        ;     Child Loop BB3_19 Depth 2
                                        ;       Child Loop BB3_20 Depth 3
                                        ;     Child Loop BB3_26 Depth 2
                                        ;       Child Loop BB3_27 Depth 3
	;; [unrolled: 2-line block ×12, first 2 shown]
	s_mul_i32 s18, s15, s7
	s_mul_hi_u32 s20, s14, s7
	s_add_i32 s40, s20, s18
	s_mul_i32 s41, s14, s7
	s_add_u32 s20, s12, s41
	s_mul_i32 s18, s11, s7
	s_mul_hi_u32 s42, s10, s7
	s_addc_u32 s21, s13, s40
	s_add_i32 s78, s42, s18
	s_mul_i32 s79, s10, s7
	s_add_u32 s70, s8, s79
	s_mul_i32 s18, s61, s7
	s_mul_hi_u32 s42, s60, s7
	s_addc_u32 s71, s9, s78
	s_add_i32 s42, s42, s18
	s_mul_i32 s18, s5, s7
	s_mul_hi_u32 s45, s4, s7
	s_add_i32 s73, s45, s18
	s_mul_i32 s72, s4, s7
	s_lshl_b64 s[72:73], s[72:73], 4
	s_add_u32 s45, s6, s72
	s_mul_i32 s43, s60, s7
	s_addc_u32 s51, s27, s73
	s_and_b64 vcc, exec, s[16:17]
	s_mov_b64 s[72:73], -1
	s_cbranch_vccnz .LBB3_6
; %bb.5:                                ;   in Loop: Header=BB3_4 Depth=1
	s_andn2_b64 vcc, exec, s[72:73]
	s_cbranch_vccnz .LBB3_3
	s_branch .LBB3_103
.LBB3_6:                                ;   in Loop: Header=BB3_4 Depth=1
	s_add_u32 s72, s48, s79
	s_addc_u32 s73, s49, s78
	s_add_u32 s74, s46, s41
	s_addc_u32 s75, s47, s40
	s_mov_b64 s[76:77], -1
	s_and_b64 vcc, exec, s[22:23]
	s_cbranch_vccz .LBB3_95
; %bb.7:                                ;   in Loop: Header=BB3_4 Depth=1
	s_and_b64 vcc, exec, s[28:29]
	s_cbranch_vccz .LBB3_87
; %bb.8:                                ;   in Loop: Header=BB3_4 Depth=1
	;; [unrolled: 3-line block ×3, first 2 shown]
	s_and_b64 vcc, exec, s[34:35]
	s_cbranch_vccz .LBB3_71
; %bb.10:                               ;   in Loop: Header=BB3_4 Depth=1
	s_and_b64 vcc, exec, s[36:37]
	s_cbranch_vccz .LBB3_63
; %bb.11:                               ;   in Loop: Header=BB3_4 Depth=1
	v_mov_b32_e32 v0, s42
	v_add_co_u32_e32 v5, vcc, s43, v20
	v_addc_co_u32_e32 v6, vcc, v21, v0, vcc
	s_and_b64 vcc, exec, s[38:39]
	s_cbranch_vccz .LBB3_55
; %bb.12:                               ;   in Loop: Header=BB3_4 Depth=1
	v_readlane_b32 s18, v56, 10
	s_add_u32 s76, s18, s79
	s_addc_u32 s77, s92, s78
	s_add_u32 s78, s93, s41
	v_mov_b32_e32 v0, s42
	v_add_co_u32_e32 v7, vcc, s43, v22
	s_addc_u32 s79, s94, s40
	v_readlane_b32 s40, v56, 0
	v_addc_co_u32_e32 v8, vcc, v23, v0, vcc
	v_readlane_b32 s41, v56, 1
	s_mov_b64 s[80:81], -1
	s_and_b64 vcc, exec, s[40:41]
	s_cbranch_vccz .LBB3_46
; %bb.13:                               ;   in Loop: Header=BB3_4 Depth=1
	v_readlane_b32 s40, v56, 2
	v_readlane_b32 s41, v56, 3
	s_and_b64 vcc, exec, s[40:41]
	s_cbranch_vccz .LBB3_38
; %bb.14:                               ;   in Loop: Header=BB3_4 Depth=1
	v_readlane_b32 s40, v56, 4
	v_readlane_b32 s41, v56, 5
	;; [unrolled: 5-line block ×3, first 2 shown]
	s_and_b64 vcc, exec, s[40:41]
	s_cbranch_vccz .LBB3_22
; %bb.16:                               ;   in Loop: Header=BB3_4 Depth=1
	s_mov_b64 s[80:81], exec
	v_readlane_b32 s40, v56, 8
	v_readlane_b32 s41, v56, 9
	s_and_b64 s[40:41], s[80:81], s[40:41]
	s_mov_b64 exec, s[40:41]
	s_cbranch_execz .LBB3_21
; %bb.17:                               ;   in Loop: Header=BB3_4 Depth=1
	s_lshl_b64 s[40:41], s[66:67], 4
	v_mov_b32_e32 v0, s42
	v_add_co_u32_e32 v9, vcc, s43, v18
	s_add_u32 s40, s45, s40
	v_addc_co_u32_e32 v10, vcc, v19, v0, vcc
	s_addc_u32 s41, s51, s41
	s_mov_b64 s[82:83], 0
	v_mov_b32_e32 v11, v4
	s_branch .LBB3_19
.LBB3_18:                               ;   in Loop: Header=BB3_19 Depth=2
	v_add_u32_e32 v11, s58, v11
	v_cmp_le_i32_e32 vcc, s19, v11
	s_waitcnt vmcnt(0)
	global_store_dwordx4 v[12:13], v[0:3], off
	s_or_b64 s[82:83], vcc, s[82:83]
	v_mov_b32_e32 v0, s63
	v_add_co_u32_e32 v9, vcc, s62, v9
	v_addc_co_u32_e32 v10, vcc, v10, v0, vcc
	s_andn2_b64 exec, exec, s[82:83]
	s_cbranch_execz .LBB3_21
.LBB3_19:                               ;   Parent Loop BB3_4 Depth=1
                                        ; =>  This Loop Header: Depth=2
                                        ;       Child Loop BB3_20 Depth 3
	v_ashrrev_i32_e32 v12, 31, v11
	v_lshlrev_b64 v[0:1], 4, v[11:12]
	v_mov_b32_e32 v2, s41
	v_add_co_u32_e32 v12, vcc, s40, v0
	v_addc_co_u32_e32 v13, vcc, v2, v1, vcc
	global_load_dwordx4 v[0:3], v[12:13], off
	v_mov_b32_e32 v15, v10
	s_andn2_b64 vcc, exec, s[52:53]
	v_mov_b32_e32 v14, v9
	s_mov_b64 s[84:85], s[78:79]
	s_mov_b64 s[86:87], s[76:77]
	s_mov_b32 s18, s91
	s_cbranch_vccnz .LBB3_18
.LBB3_20:                               ;   Parent Loop BB3_4 Depth=1
                                        ;     Parent Loop BB3_19 Depth=2
                                        ; =>    This Inner Loop Header: Depth=3
	global_load_dwordx4 v[39:42], v[14:15], off offset:-8
	global_load_dwordx2 v[43:44], v38, s[86:87]
	global_load_dwordx2 v[45:46], v38, s[84:85]
	s_add_i32 s18, s18, -1
	s_add_u32 s86, s86, -8
	s_addc_u32 s87, s87, -1
	s_add_u32 s84, s84, -8
	v_mov_b32_e32 v55, s95
	s_addc_u32 s85, s85, -1
	s_cmp_eq_u32 s18, 0
	s_waitcnt vmcnt(1)
	v_mul_f64 v[47:48], v[43:44], v[39:40]
	v_mul_f64 v[49:50], v[43:44], v[41:42]
	s_waitcnt vmcnt(0)
	v_mul_f64 v[51:52], v[45:46], v[39:40]
	v_mul_f64 v[53:54], v[45:46], v[41:42]
	v_fma_f64 v[39:40], v[0:1], v[45:46], v[47:48]
	v_fma_f64 v[41:42], v[2:3], v[45:46], v[49:50]
	v_fma_f64 v[0:1], v[0:1], v[43:44], -v[51:52]
	v_fma_f64 v[2:3], v[2:3], v[43:44], -v[53:54]
	global_store_dwordx4 v[14:15], v[39:42], off offset:-8
	v_add_co_u32_e32 v14, vcc, s59, v14
	v_addc_co_u32_e32 v15, vcc, v15, v55, vcc
	s_cbranch_scc0 .LBB3_20
	s_branch .LBB3_18
.LBB3_21:                               ;   in Loop: Header=BB3_4 Depth=1
	s_or_b64 exec, exec, s[80:81]
	s_mov_b64 s[80:81], 0
.LBB3_22:                               ;   in Loop: Header=BB3_4 Depth=1
	s_andn2_b64 vcc, exec, s[80:81]
	s_cbranch_vccnz .LBB3_29
; %bb.23:                               ;   in Loop: Header=BB3_4 Depth=1
	s_and_saveexec_b64 s[80:81], s[0:1]
	s_cbranch_execz .LBB3_28
; %bb.24:                               ;   in Loop: Header=BB3_4 Depth=1
	s_lshl_b64 s[40:41], s[66:67], 4
	s_add_u32 s40, s45, s40
	v_mov_b32_e32 v10, v6
	s_addc_u32 s41, s51, s41
	s_mov_b64 s[82:83], 0
	v_mov_b32_e32 v9, v5
	v_mov_b32_e32 v11, v4
	s_branch .LBB3_26
.LBB3_25:                               ;   in Loop: Header=BB3_26 Depth=2
	v_add_u32_e32 v11, s58, v11
	v_cmp_le_i32_e32 vcc, s19, v11
	s_waitcnt vmcnt(0)
	global_store_dwordx4 v[12:13], v[0:3], off
	s_or_b64 s[82:83], vcc, s[82:83]
	v_mov_b32_e32 v0, s63
	v_add_co_u32_e32 v9, vcc, s62, v9
	v_addc_co_u32_e32 v10, vcc, v10, v0, vcc
	s_andn2_b64 exec, exec, s[82:83]
	s_cbranch_execz .LBB3_28
.LBB3_26:                               ;   Parent Loop BB3_4 Depth=1
                                        ; =>  This Loop Header: Depth=2
                                        ;       Child Loop BB3_27 Depth 3
	v_ashrrev_i32_e32 v12, 31, v11
	v_lshlrev_b64 v[0:1], 4, v[11:12]
	v_mov_b32_e32 v2, s41
	v_add_co_u32_e32 v12, vcc, s40, v0
	v_addc_co_u32_e32 v13, vcc, v2, v1, vcc
	global_load_dwordx4 v[0:3], v[12:13], off
	v_mov_b32_e32 v15, v10
	s_andn2_b64 vcc, exec, s[52:53]
	v_mov_b32_e32 v14, v9
	s_mov_b64 s[84:85], s[20:21]
	s_mov_b64 s[86:87], s[70:71]
	s_mov_b32 s18, s91
	s_cbranch_vccnz .LBB3_25
.LBB3_27:                               ;   Parent Loop BB3_4 Depth=1
                                        ;     Parent Loop BB3_26 Depth=2
                                        ; =>    This Inner Loop Header: Depth=3
	global_load_dwordx4 v[39:42], v[14:15], off offset:-8
	global_load_dwordx2 v[43:44], v38, s[86:87]
	global_load_dwordx2 v[45:46], v38, s[84:85]
	s_add_i32 s18, s18, -1
	s_add_u32 s86, s86, 8
	s_addc_u32 s87, s87, 0
	s_add_u32 s84, s84, 8
	v_mov_b32_e32 v55, s65
	s_addc_u32 s85, s85, 0
	s_cmp_eq_u32 s18, 0
	s_waitcnt vmcnt(1)
	v_mul_f64 v[47:48], v[43:44], v[39:40]
	v_mul_f64 v[49:50], v[43:44], v[41:42]
	s_waitcnt vmcnt(0)
	v_mul_f64 v[51:52], v[45:46], v[39:40]
	v_mul_f64 v[53:54], v[45:46], v[41:42]
	v_fma_f64 v[39:40], v[0:1], v[45:46], v[47:48]
	v_fma_f64 v[41:42], v[2:3], v[45:46], v[49:50]
	v_fma_f64 v[0:1], v[0:1], v[43:44], -v[51:52]
	v_fma_f64 v[2:3], v[2:3], v[43:44], -v[53:54]
	global_store_dwordx4 v[14:15], v[39:42], off offset:-8
	v_add_co_u32_e32 v14, vcc, s64, v14
	v_addc_co_u32_e32 v15, vcc, v15, v55, vcc
	s_cbranch_scc0 .LBB3_27
	s_branch .LBB3_25
.LBB3_28:                               ;   in Loop: Header=BB3_4 Depth=1
	s_or_b64 exec, exec, s[80:81]
.LBB3_29:                               ;   in Loop: Header=BB3_4 Depth=1
	s_mov_b64 s[80:81], 0
.LBB3_30:                               ;   in Loop: Header=BB3_4 Depth=1
	s_andn2_b64 vcc, exec, s[80:81]
	s_cbranch_vccnz .LBB3_37
; %bb.31:                               ;   in Loop: Header=BB3_4 Depth=1
	s_and_saveexec_b64 s[80:81], s[0:1]
	s_cbranch_execz .LBB3_36
; %bb.32:                               ;   in Loop: Header=BB3_4 Depth=1
	v_mov_b32_e32 v10, v8
	s_mov_b64 s[82:83], 0
	v_mov_b32_e32 v9, v7
	v_mov_b32_e32 v11, v4
	s_branch .LBB3_34
.LBB3_33:                               ;   in Loop: Header=BB3_34 Depth=2
	v_add_u32_e32 v11, s58, v11
	v_cmp_le_i32_e32 vcc, s19, v11
	s_waitcnt vmcnt(0)
	global_store_dwordx4 v[12:13], v[0:3], off
	s_or_b64 s[82:83], vcc, s[82:83]
	v_mov_b32_e32 v0, s63
	v_add_co_u32_e32 v9, vcc, s62, v9
	v_addc_co_u32_e32 v10, vcc, v10, v0, vcc
	s_andn2_b64 exec, exec, s[82:83]
	s_cbranch_execz .LBB3_36
.LBB3_34:                               ;   Parent Loop BB3_4 Depth=1
                                        ; =>  This Loop Header: Depth=2
                                        ;       Child Loop BB3_35 Depth 3
	v_ashrrev_i32_e32 v12, 31, v11
	v_lshlrev_b64 v[0:1], 4, v[11:12]
	v_mov_b32_e32 v2, s51
	v_add_co_u32_e32 v12, vcc, s45, v0
	v_addc_co_u32_e32 v13, vcc, v2, v1, vcc
	global_load_dwordx4 v[0:3], v[12:13], off
	v_mov_b32_e32 v15, v10
	s_andn2_b64 vcc, exec, s[52:53]
	v_mov_b32_e32 v14, v9
	s_mov_b64 s[84:85], s[78:79]
	s_mov_b64 s[86:87], s[76:77]
	s_mov_b32 s40, s25
	s_cbranch_vccnz .LBB3_33
.LBB3_35:                               ;   Parent Loop BB3_4 Depth=1
                                        ;     Parent Loop BB3_34 Depth=2
                                        ; =>    This Inner Loop Header: Depth=3
	global_load_dwordx2 v[43:44], v38, s[84:85]
	global_load_dwordx4 v[39:42], v[14:15], off offset:-8
	global_load_dwordx2 v[45:46], v38, s[86:87]
	s_add_i32 s40, s40, -1
	s_add_u32 s86, s86, -8
	s_addc_u32 s87, s87, -1
	s_add_u32 s84, s84, -8
	v_mov_b32_e32 v53, s95
	s_addc_u32 s85, s85, -1
	s_cmp_lt_u32 s40, 3
	s_waitcnt vmcnt(2)
	v_mul_f64 v[47:48], v[0:1], v[43:44]
	v_mul_f64 v[49:50], v[2:3], v[43:44]
	s_waitcnt vmcnt(1)
	v_mul_f64 v[51:52], v[43:44], v[39:40]
	v_mul_f64 v[43:44], v[43:44], v[41:42]
	s_waitcnt vmcnt(0)
	v_fma_f64 v[39:40], v[45:46], v[39:40], -v[47:48]
	v_fma_f64 v[41:42], v[45:46], v[41:42], -v[49:50]
	v_fma_f64 v[0:1], v[0:1], v[45:46], v[51:52]
	v_fma_f64 v[2:3], v[2:3], v[45:46], v[43:44]
	global_store_dwordx4 v[14:15], v[39:42], off offset:-8
	v_add_co_u32_e32 v14, vcc, s59, v14
	v_addc_co_u32_e32 v15, vcc, v15, v53, vcc
	s_cbranch_scc0 .LBB3_35
	s_branch .LBB3_33
.LBB3_36:                               ;   in Loop: Header=BB3_4 Depth=1
	s_or_b64 exec, exec, s[80:81]
.LBB3_37:                               ;   in Loop: Header=BB3_4 Depth=1
	s_mov_b64 s[80:81], 0
.LBB3_38:                               ;   in Loop: Header=BB3_4 Depth=1
	s_andn2_b64 vcc, exec, s[80:81]
	s_cbranch_vccnz .LBB3_45
; %bb.39:                               ;   in Loop: Header=BB3_4 Depth=1
	s_and_saveexec_b64 s[80:81], s[0:1]
	s_cbranch_execz .LBB3_44
; %bb.40:                               ;   in Loop: Header=BB3_4 Depth=1
	v_mov_b32_e32 v0, s42
	v_add_co_u32_e32 v9, vcc, s43, v24
	v_addc_co_u32_e32 v10, vcc, v25, v0, vcc
	s_mov_b64 s[82:83], 0
	v_mov_b32_e32 v11, v4
	s_branch .LBB3_42
.LBB3_41:                               ;   in Loop: Header=BB3_42 Depth=2
	v_add_u32_e32 v11, s58, v11
	v_cmp_le_i32_e32 vcc, s19, v11
	s_waitcnt vmcnt(0)
	global_store_dwordx4 v[12:13], v[0:3], off
	s_or_b64 s[82:83], vcc, s[82:83]
	v_mov_b32_e32 v0, s63
	v_add_co_u32_e32 v9, vcc, s62, v9
	v_addc_co_u32_e32 v10, vcc, v10, v0, vcc
	s_andn2_b64 exec, exec, s[82:83]
	s_cbranch_execz .LBB3_44
.LBB3_42:                               ;   Parent Loop BB3_4 Depth=1
                                        ; =>  This Loop Header: Depth=2
                                        ;       Child Loop BB3_43 Depth 3
	v_ashrrev_i32_e32 v12, 31, v11
	v_lshlrev_b64 v[0:1], 4, v[11:12]
	v_mov_b32_e32 v2, s51
	v_add_co_u32_e32 v12, vcc, s45, v0
	v_addc_co_u32_e32 v13, vcc, v2, v1, vcc
	global_load_dwordx4 v[0:3], v[12:13], off
	v_mov_b32_e32 v15, v10
	s_andn2_b64 vcc, exec, s[52:53]
	v_mov_b32_e32 v14, v9
	s_mov_b32 s40, s91
	s_mov_b64 s[84:85], s[70:71]
	s_mov_b64 s[86:87], s[20:21]
	s_cbranch_vccnz .LBB3_41
.LBB3_43:                               ;   Parent Loop BB3_4 Depth=1
                                        ;     Parent Loop BB3_42 Depth=2
                                        ; =>    This Inner Loop Header: Depth=3
	global_load_dwordx2 v[43:44], v38, s[86:87]
	global_load_dwordx4 v[39:42], v[14:15], off offset:-8
	global_load_dwordx2 v[45:46], v38, s[84:85]
	s_add_u32 s86, s86, 8
	s_addc_u32 s87, s87, 0
	s_add_u32 s84, s84, 8
	v_mov_b32_e32 v53, s65
	s_addc_u32 s85, s85, 0
	s_add_i32 s40, s40, -1
	s_cmp_eq_u32 s40, 0
	s_waitcnt vmcnt(2)
	v_mul_f64 v[47:48], v[0:1], v[43:44]
	v_mul_f64 v[49:50], v[2:3], v[43:44]
	s_waitcnt vmcnt(1)
	v_mul_f64 v[51:52], v[43:44], v[39:40]
	v_mul_f64 v[43:44], v[43:44], v[41:42]
	s_waitcnt vmcnt(0)
	v_fma_f64 v[39:40], v[45:46], v[39:40], -v[47:48]
	v_fma_f64 v[41:42], v[45:46], v[41:42], -v[49:50]
	v_fma_f64 v[0:1], v[0:1], v[45:46], v[51:52]
	v_fma_f64 v[2:3], v[2:3], v[45:46], v[43:44]
	global_store_dwordx4 v[14:15], v[39:42], off offset:-8
	v_add_co_u32_e32 v14, vcc, s64, v14
	v_addc_co_u32_e32 v15, vcc, v15, v53, vcc
	s_cbranch_scc0 .LBB3_43
	s_branch .LBB3_41
.LBB3_44:                               ;   in Loop: Header=BB3_4 Depth=1
	s_or_b64 exec, exec, s[80:81]
.LBB3_45:                               ;   in Loop: Header=BB3_4 Depth=1
	s_mov_b64 s[80:81], 0
.LBB3_46:                               ;   in Loop: Header=BB3_4 Depth=1
	s_andn2_b64 vcc, exec, s[80:81]
	s_cbranch_vccnz .LBB3_54
; %bb.47:                               ;   in Loop: Header=BB3_4 Depth=1
	s_and_saveexec_b64 s[80:81], s[0:1]
	s_cbranch_execz .LBB3_53
; %bb.48:                               ;   in Loop: Header=BB3_4 Depth=1
	s_lshl_b64 s[40:41], s[66:67], 4
	v_mov_b32_e32 v0, s42
	v_add_co_u32_e32 v12, vcc, s43, v16
	s_add_u32 s40, s45, s40
	v_addc_co_u32_e32 v13, vcc, v17, v0, vcc
	s_addc_u32 s41, s51, s41
	s_mov_b64 s[82:83], 0
	v_mov_b32_e32 v9, v4
	s_branch .LBB3_50
.LBB3_49:                               ;   in Loop: Header=BB3_50 Depth=2
	v_mov_b32_e32 v14, s51
	v_add_co_u32_e32 v10, vcc, s45, v10
	v_addc_co_u32_e32 v11, vcc, v14, v11, vcc
	s_waitcnt vmcnt(0)
	global_store_dwordx4 v[10:11], v[0:3], off
	v_add_co_u32_e32 v12, vcc, s62, v12
	v_mov_b32_e32 v0, s63
	v_add_u32_e32 v9, s58, v9
	v_addc_co_u32_e32 v13, vcc, v13, v0, vcc
	v_cmp_le_i32_e32 vcc, s19, v9
	s_or_b64 s[82:83], vcc, s[82:83]
	v_add_co_u32_e32 v7, vcc, s62, v7
	v_addc_co_u32_e32 v8, vcc, v8, v0, vcc
	s_andn2_b64 exec, exec, s[82:83]
	s_cbranch_execz .LBB3_53
.LBB3_50:                               ;   Parent Loop BB3_4 Depth=1
                                        ; =>  This Loop Header: Depth=2
                                        ;       Child Loop BB3_52 Depth 3
	v_ashrrev_i32_e32 v10, 31, v9
	v_lshlrev_b64 v[10:11], 4, v[9:10]
	v_mov_b32_e32 v1, s41
	v_add_co_u32_e32 v0, vcc, s40, v10
	v_addc_co_u32_e32 v1, vcc, v1, v11, vcc
	global_load_dwordx4 v[0:3], v[0:1], off
	s_andn2_b64 vcc, exec, s[52:53]
	s_cbranch_vccnz .LBB3_49
; %bb.51:                               ;   in Loop: Header=BB3_50 Depth=2
	s_mov_b64 s[84:85], 0
	s_mov_b64 s[86:87], s[78:79]
	s_mov_b64 s[88:89], s[76:77]
	s_mov_b32 s18, s91
.LBB3_52:                               ;   Parent Loop BB3_4 Depth=1
                                        ;     Parent Loop BB3_50 Depth=2
                                        ; =>    This Inner Loop Header: Depth=3
	v_mov_b32_e32 v54, s85
	v_add_co_u32_e32 v39, vcc, s84, v12
	v_addc_co_u32_e32 v40, vcc, v13, v54, vcc
	global_load_dwordx2 v[14:15], v38, s[86:87]
	s_nop 0
	global_load_dwordx4 v[39:42], v[39:40], off
	s_nop 0
	global_load_dwordx2 v[43:44], v38, s[88:89]
	s_add_i32 s18, s18, -1
	v_add_co_u32_e32 v53, vcc, s84, v7
	s_sub_u32 s84, s84, s64
	s_subb_u32 s85, s85, s65
	s_add_u32 s88, s88, -8
	s_addc_u32 s89, s89, -1
	s_add_u32 s86, s86, -8
	s_addc_u32 s87, s87, -1
	v_addc_co_u32_e32 v54, vcc, v8, v54, vcc
	s_cmp_eq_u32 s18, 0
	s_waitcnt vmcnt(1)
	v_mul_f64 v[45:46], v[14:15], v[39:40]
	v_mul_f64 v[47:48], v[14:15], v[41:42]
	s_waitcnt vmcnt(0)
	v_mul_f64 v[49:50], v[43:44], v[39:40]
	v_mul_f64 v[51:52], v[43:44], v[41:42]
	v_fma_f64 v[39:40], v[0:1], v[43:44], -v[45:46]
	v_fma_f64 v[41:42], v[2:3], v[43:44], -v[47:48]
	v_fma_f64 v[0:1], v[0:1], v[14:15], v[49:50]
	v_fma_f64 v[2:3], v[2:3], v[14:15], v[51:52]
	global_store_dwordx4 v[53:54], v[39:42], off offset:-8
	s_cbranch_scc0 .LBB3_52
	s_branch .LBB3_49
.LBB3_53:                               ;   in Loop: Header=BB3_4 Depth=1
	s_or_b64 exec, exec, s[80:81]
.LBB3_54:                               ;   in Loop: Header=BB3_4 Depth=1
	s_mov_b64 s[76:77], 0
.LBB3_55:                               ;   in Loop: Header=BB3_4 Depth=1
	s_andn2_b64 vcc, exec, s[76:77]
	s_cbranch_vccnz .LBB3_62
; %bb.56:                               ;   in Loop: Header=BB3_4 Depth=1
	s_and_saveexec_b64 s[76:77], s[0:1]
	s_cbranch_execz .LBB3_61
; %bb.57:                               ;   in Loop: Header=BB3_4 Depth=1
	s_lshl_b64 s[40:41], s[66:67], 4
	s_add_u32 s40, s45, s40
	s_addc_u32 s41, s51, s41
	s_mov_b64 s[78:79], 0
	v_mov_b32_e32 v7, v4
	s_branch .LBB3_59
.LBB3_58:                               ;   in Loop: Header=BB3_59 Depth=2
	v_mov_b32_e32 v10, s41
	v_add_co_u32_e32 v8, vcc, s40, v8
	v_addc_co_u32_e32 v9, vcc, v10, v9, vcc
	v_add_u32_e32 v7, s58, v7
	v_cmp_le_i32_e32 vcc, s19, v7
	s_waitcnt vmcnt(0)
	global_store_dwordx4 v[8:9], v[0:3], off
	s_or_b64 s[78:79], vcc, s[78:79]
	v_mov_b32_e32 v0, s63
	v_add_co_u32_e32 v5, vcc, s62, v5
	v_addc_co_u32_e32 v6, vcc, v6, v0, vcc
	s_andn2_b64 exec, exec, s[78:79]
	s_cbranch_execz .LBB3_61
.LBB3_59:                               ;   Parent Loop BB3_4 Depth=1
                                        ; =>  This Loop Header: Depth=2
                                        ;       Child Loop BB3_60 Depth 3
	v_ashrrev_i32_e32 v8, 31, v7
	v_lshlrev_b64 v[8:9], 4, v[7:8]
	v_mov_b32_e32 v1, s51
	v_add_co_u32_e32 v0, vcc, s45, v8
	v_addc_co_u32_e32 v1, vcc, v1, v9, vcc
	global_load_dwordx4 v[0:3], v[0:1], off
	v_mov_b32_e32 v11, v6
	s_andn2_b64 vcc, exec, s[52:53]
	s_mov_b64 s[80:81], s[20:21]
	s_mov_b64 s[82:83], s[70:71]
	v_mov_b32_e32 v10, v5
	s_mov_b32 s18, s91
	s_cbranch_vccnz .LBB3_58
.LBB3_60:                               ;   Parent Loop BB3_4 Depth=1
                                        ;     Parent Loop BB3_59 Depth=2
                                        ; =>    This Inner Loop Header: Depth=3
	v_mov_b32_e32 v12, s65
	v_add_co_u32_e32 v43, vcc, s64, v10
	v_addc_co_u32_e32 v44, vcc, v11, v12, vcc
	global_load_dwordx4 v[12:15], v[43:44], off offset:-8
	global_load_dwordx2 v[39:40], v38, s[80:81]
	global_load_dwordx2 v[45:46], v38, s[82:83]
	s_add_i32 s18, s18, -1
	s_add_u32 s82, s82, 8
	s_addc_u32 s83, s83, 0
	s_add_u32 s80, s80, 8
	s_addc_u32 s81, s81, 0
	s_cmp_eq_u32 s18, 0
	s_waitcnt vmcnt(1)
	v_mul_f64 v[41:42], v[39:40], v[12:13]
	v_mul_f64 v[47:48], v[39:40], v[14:15]
	v_mul_f64 v[49:50], v[0:1], v[39:40]
	v_mul_f64 v[51:52], v[2:3], v[39:40]
	s_waitcnt vmcnt(0)
	v_fma_f64 v[39:40], v[0:1], v[45:46], v[41:42]
	v_fma_f64 v[41:42], v[2:3], v[45:46], v[47:48]
	v_fma_f64 v[0:1], v[45:46], v[12:13], -v[49:50]
	v_fma_f64 v[2:3], v[45:46], v[14:15], -v[51:52]
	global_store_dwordx4 v[10:11], v[39:42], off offset:-8
	v_mov_b32_e32 v10, v43
	v_mov_b32_e32 v11, v44
	s_cbranch_scc0 .LBB3_60
	s_branch .LBB3_58
.LBB3_61:                               ;   in Loop: Header=BB3_4 Depth=1
	s_or_b64 exec, exec, s[76:77]
.LBB3_62:                               ;   in Loop: Header=BB3_4 Depth=1
	s_mov_b64 s[76:77], 0
.LBB3_63:                               ;   in Loop: Header=BB3_4 Depth=1
	s_andn2_b64 vcc, exec, s[76:77]
	s_cbranch_vccnz .LBB3_70
; %bb.64:                               ;   in Loop: Header=BB3_4 Depth=1
	s_and_saveexec_b64 s[76:77], s[2:3]
	s_cbranch_execz .LBB3_69
; %bb.65:                               ;   in Loop: Header=BB3_4 Depth=1
	s_lshl_b64 s[40:41], s[54:55], 4
	v_mov_b32_e32 v0, s42
	v_add_co_u32_e32 v5, vcc, s43, v28
	s_add_u32 s40, s45, s40
	v_addc_co_u32_e32 v6, vcc, v29, v0, vcc
	s_addc_u32 s41, s51, s41
	s_mov_b64 s[78:79], 0
	v_mov_b32_e32 v11, v4
	s_branch .LBB3_67
.LBB3_66:                               ;   in Loop: Header=BB3_67 Depth=2
	v_add_u32_e32 v11, s58, v11
	v_cmp_le_i32_e32 vcc, s90, v11
	s_waitcnt vmcnt(0)
	global_store_dwordx4 v[7:8], v[0:3], off offset:-16
	s_or_b64 s[78:79], vcc, s[78:79]
	v_mov_b32_e32 v0, s69
	v_add_co_u32_e32 v5, vcc, s68, v5
	v_addc_co_u32_e32 v6, vcc, v6, v0, vcc
	s_andn2_b64 exec, exec, s[78:79]
	s_cbranch_execz .LBB3_69
.LBB3_67:                               ;   Parent Loop BB3_4 Depth=1
                                        ; =>  This Loop Header: Depth=2
                                        ;       Child Loop BB3_68 Depth 3
	v_mad_i64_i32 v[0:1], s[80:81], v11, s24, 0
	v_mov_b32_e32 v2, s41
	v_mov_b32_e32 v10, v6
	v_lshlrev_b64 v[0:1], 4, v[0:1]
	v_mov_b32_e32 v9, v5
	v_add_co_u32_e32 v7, vcc, s40, v0
	v_addc_co_u32_e32 v8, vcc, v2, v1, vcc
	global_load_dwordx4 v[0:3], v[7:8], off offset:-16
	s_andn2_b64 vcc, exec, s[56:57]
	s_mov_b64 s[80:81], s[74:75]
	s_mov_b64 s[82:83], s[72:73]
	s_mov_b32 s18, s50
	s_cbranch_vccnz .LBB3_66
.LBB3_68:                               ;   Parent Loop BB3_4 Depth=1
                                        ;     Parent Loop BB3_67 Depth=2
                                        ; =>    This Inner Loop Header: Depth=3
	global_load_dwordx4 v[12:15], v[9:10], off offset:-8
	global_load_dwordx2 v[39:40], v38, s[82:83]
	global_load_dwordx2 v[41:42], v38, s[80:81]
	s_add_i32 s18, s18, -1
	s_add_u32 s82, s82, -8
	s_addc_u32 s83, s83, -1
	s_add_u32 s80, s80, -8
	s_addc_u32 s81, s81, -1
	s_cmp_eq_u32 s18, 0
	s_waitcnt vmcnt(1)
	v_mul_f64 v[43:44], v[39:40], v[12:13]
	v_mul_f64 v[45:46], v[39:40], v[14:15]
	s_waitcnt vmcnt(0)
	v_mul_f64 v[47:48], v[41:42], v[12:13]
	v_mul_f64 v[49:50], v[41:42], v[14:15]
	v_fma_f64 v[12:13], v[0:1], v[41:42], v[43:44]
	v_fma_f64 v[14:15], v[2:3], v[41:42], v[45:46]
	v_fma_f64 v[0:1], v[0:1], v[39:40], -v[47:48]
	v_fma_f64 v[2:3], v[2:3], v[39:40], -v[49:50]
	global_store_dwordx4 v[9:10], v[12:15], off offset:-8
	v_add_co_u32_e32 v9, vcc, -16, v9
	v_addc_co_u32_e32 v10, vcc, -1, v10, vcc
	s_cbranch_scc0 .LBB3_68
	s_branch .LBB3_66
.LBB3_69:                               ;   in Loop: Header=BB3_4 Depth=1
	s_or_b64 exec, exec, s[76:77]
.LBB3_70:                               ;   in Loop: Header=BB3_4 Depth=1
	s_mov_b64 s[76:77], 0
.LBB3_71:                               ;   in Loop: Header=BB3_4 Depth=1
	s_andn2_b64 vcc, exec, s[76:77]
	s_cbranch_vccnz .LBB3_78
; %bb.72:                               ;   in Loop: Header=BB3_4 Depth=1
	s_and_saveexec_b64 s[76:77], s[2:3]
	s_cbranch_execz .LBB3_77
; %bb.73:                               ;   in Loop: Header=BB3_4 Depth=1
	s_lshl_b64 s[40:41], s[54:55], 4
	v_mov_b32_e32 v0, s42
	v_add_co_u32_e32 v5, vcc, s43, v30
	s_add_u32 s40, s45, s40
	v_addc_co_u32_e32 v6, vcc, v31, v0, vcc
	s_addc_u32 s41, s51, s41
	s_mov_b64 s[78:79], 0
	v_mov_b32_e32 v11, v4
	s_branch .LBB3_75
.LBB3_74:                               ;   in Loop: Header=BB3_75 Depth=2
	v_add_u32_e32 v11, s58, v11
	v_cmp_le_i32_e32 vcc, s90, v11
	s_waitcnt vmcnt(0)
	global_store_dwordx4 v[7:8], v[0:3], off offset:-16
	s_or_b64 s[78:79], vcc, s[78:79]
	v_mov_b32_e32 v0, s69
	v_add_co_u32_e32 v5, vcc, s68, v5
	v_addc_co_u32_e32 v6, vcc, v6, v0, vcc
	s_andn2_b64 exec, exec, s[78:79]
	s_cbranch_execz .LBB3_77
.LBB3_75:                               ;   Parent Loop BB3_4 Depth=1
                                        ; =>  This Loop Header: Depth=2
                                        ;       Child Loop BB3_76 Depth 3
	v_mad_i64_i32 v[0:1], s[80:81], v11, s24, 0
	v_mov_b32_e32 v2, s41
	v_mov_b32_e32 v10, v6
	v_lshlrev_b64 v[0:1], 4, v[0:1]
	v_mov_b32_e32 v9, v5
	v_add_co_u32_e32 v7, vcc, s40, v0
	v_addc_co_u32_e32 v8, vcc, v2, v1, vcc
	global_load_dwordx4 v[0:3], v[7:8], off offset:-16
	s_andn2_b64 vcc, exec, s[56:57]
	s_mov_b64 s[80:81], s[20:21]
	s_mov_b64 s[82:83], s[70:71]
	s_mov_b32 s18, s50
	s_cbranch_vccnz .LBB3_74
.LBB3_76:                               ;   Parent Loop BB3_4 Depth=1
                                        ;     Parent Loop BB3_75 Depth=2
                                        ; =>    This Inner Loop Header: Depth=3
	global_load_dwordx4 v[12:15], v[9:10], off offset:-8
	global_load_dwordx2 v[39:40], v38, s[82:83]
	global_load_dwordx2 v[41:42], v38, s[80:81]
	s_add_i32 s18, s18, -1
	s_add_u32 s82, s82, 8
	s_addc_u32 s83, s83, 0
	s_add_u32 s80, s80, 8
	s_addc_u32 s81, s81, 0
	s_cmp_eq_u32 s18, 0
	s_waitcnt vmcnt(1)
	v_mul_f64 v[43:44], v[39:40], v[12:13]
	v_mul_f64 v[45:46], v[39:40], v[14:15]
	s_waitcnt vmcnt(0)
	v_mul_f64 v[47:48], v[41:42], v[12:13]
	v_mul_f64 v[49:50], v[41:42], v[14:15]
	v_fma_f64 v[12:13], v[0:1], v[41:42], v[43:44]
	v_fma_f64 v[14:15], v[2:3], v[41:42], v[45:46]
	v_fma_f64 v[0:1], v[0:1], v[39:40], -v[47:48]
	v_fma_f64 v[2:3], v[2:3], v[39:40], -v[49:50]
	global_store_dwordx4 v[9:10], v[12:15], off offset:-8
	v_add_co_u32_e32 v9, vcc, 16, v9
	v_addc_co_u32_e32 v10, vcc, 0, v10, vcc
	s_cbranch_scc0 .LBB3_76
	s_branch .LBB3_74
.LBB3_77:                               ;   in Loop: Header=BB3_4 Depth=1
	s_or_b64 exec, exec, s[76:77]
.LBB3_78:                               ;   in Loop: Header=BB3_4 Depth=1
	s_mov_b64 s[76:77], 0
.LBB3_79:                               ;   in Loop: Header=BB3_4 Depth=1
	s_andn2_b64 vcc, exec, s[76:77]
	s_cbranch_vccnz .LBB3_86
; %bb.80:                               ;   in Loop: Header=BB3_4 Depth=1
	s_and_saveexec_b64 s[76:77], s[2:3]
	s_cbranch_execz .LBB3_85
; %bb.81:                               ;   in Loop: Header=BB3_4 Depth=1
	v_mov_b32_e32 v0, s42
	v_add_co_u32_e32 v5, vcc, s43, v32
	v_addc_co_u32_e32 v6, vcc, v33, v0, vcc
	s_mov_b64 s[78:79], 0
	v_mov_b32_e32 v11, v4
	s_branch .LBB3_83
.LBB3_82:                               ;   in Loop: Header=BB3_83 Depth=2
	v_add_u32_e32 v11, s58, v11
	v_cmp_le_i32_e32 vcc, s90, v11
	s_waitcnt vmcnt(0)
	global_store_dwordx4 v[7:8], v[0:3], off
	s_or_b64 s[78:79], vcc, s[78:79]
	v_mov_b32_e32 v0, s69
	v_add_co_u32_e32 v5, vcc, s68, v5
	v_addc_co_u32_e32 v6, vcc, v6, v0, vcc
	s_andn2_b64 exec, exec, s[78:79]
	s_cbranch_execz .LBB3_85
.LBB3_83:                               ;   Parent Loop BB3_4 Depth=1
                                        ; =>  This Loop Header: Depth=2
                                        ;       Child Loop BB3_84 Depth 3
	v_mad_i64_i32 v[0:1], s[40:41], v11, s24, 0
	v_mov_b32_e32 v2, s51
	v_mov_b32_e32 v10, v6
	v_lshlrev_b64 v[0:1], 4, v[0:1]
	v_mov_b32_e32 v9, v5
	v_add_co_u32_e32 v7, vcc, s45, v0
	v_addc_co_u32_e32 v8, vcc, v2, v1, vcc
	global_load_dwordx4 v[0:3], v[7:8], off
	s_andn2_b64 vcc, exec, s[56:57]
	s_mov_b64 s[80:81], s[74:75]
	s_mov_b64 s[82:83], s[72:73]
	s_mov_b32 s18, s44
	s_cbranch_vccnz .LBB3_82
.LBB3_84:                               ;   Parent Loop BB3_4 Depth=1
                                        ;     Parent Loop BB3_83 Depth=2
                                        ; =>    This Inner Loop Header: Depth=3
	global_load_dwordx2 v[39:40], v38, s[80:81]
	global_load_dwordx4 v[12:15], v[9:10], off offset:-8
	global_load_dwordx2 v[41:42], v38, s[82:83]
	s_add_i32 s18, s18, -1
	s_add_u32 s82, s82, -8
	s_addc_u32 s83, s83, -1
	s_add_u32 s80, s80, -8
	s_addc_u32 s81, s81, -1
	s_cmp_lt_u32 s18, 3
	s_waitcnt vmcnt(2)
	v_mul_f64 v[43:44], v[0:1], v[39:40]
	v_mul_f64 v[45:46], v[2:3], v[39:40]
	s_waitcnt vmcnt(1)
	v_mul_f64 v[47:48], v[39:40], v[12:13]
	v_mul_f64 v[39:40], v[39:40], v[14:15]
	s_waitcnt vmcnt(0)
	v_fma_f64 v[12:13], v[41:42], v[12:13], -v[43:44]
	v_fma_f64 v[14:15], v[41:42], v[14:15], -v[45:46]
	v_fma_f64 v[0:1], v[0:1], v[41:42], v[47:48]
	v_fma_f64 v[2:3], v[2:3], v[41:42], v[39:40]
	global_store_dwordx4 v[9:10], v[12:15], off offset:-8
	v_add_co_u32_e32 v9, vcc, -16, v9
	v_addc_co_u32_e32 v10, vcc, -1, v10, vcc
	s_cbranch_scc0 .LBB3_84
	s_branch .LBB3_82
.LBB3_85:                               ;   in Loop: Header=BB3_4 Depth=1
	s_or_b64 exec, exec, s[76:77]
.LBB3_86:                               ;   in Loop: Header=BB3_4 Depth=1
	s_mov_b64 s[76:77], 0
.LBB3_87:                               ;   in Loop: Header=BB3_4 Depth=1
	s_andn2_b64 vcc, exec, s[76:77]
	s_cbranch_vccnz .LBB3_94
; %bb.88:                               ;   in Loop: Header=BB3_4 Depth=1
	s_and_saveexec_b64 s[76:77], s[2:3]
	s_cbranch_execz .LBB3_93
; %bb.89:                               ;   in Loop: Header=BB3_4 Depth=1
	v_mov_b32_e32 v0, s42
	v_add_co_u32_e32 v5, vcc, s43, v34
	v_addc_co_u32_e32 v6, vcc, v35, v0, vcc
	s_mov_b64 s[78:79], 0
	v_mov_b32_e32 v11, v4
	s_branch .LBB3_91
.LBB3_90:                               ;   in Loop: Header=BB3_91 Depth=2
	v_add_u32_e32 v11, s58, v11
	v_cmp_le_i32_e32 vcc, s90, v11
	s_waitcnt vmcnt(0)
	global_store_dwordx4 v[7:8], v[0:3], off
	s_or_b64 s[78:79], vcc, s[78:79]
	v_mov_b32_e32 v0, s69
	v_add_co_u32_e32 v5, vcc, s68, v5
	v_addc_co_u32_e32 v6, vcc, v6, v0, vcc
	s_andn2_b64 exec, exec, s[78:79]
	s_cbranch_execz .LBB3_93
.LBB3_91:                               ;   Parent Loop BB3_4 Depth=1
                                        ; =>  This Loop Header: Depth=2
                                        ;       Child Loop BB3_92 Depth 3
	v_mad_i64_i32 v[0:1], s[40:41], v11, s24, 0
	v_mov_b32_e32 v2, s51
	v_mov_b32_e32 v10, v6
	v_lshlrev_b64 v[0:1], 4, v[0:1]
	v_mov_b32_e32 v9, v5
	v_add_co_u32_e32 v7, vcc, s45, v0
	v_addc_co_u32_e32 v8, vcc, v2, v1, vcc
	global_load_dwordx4 v[0:3], v[7:8], off
	s_andn2_b64 vcc, exec, s[56:57]
	s_mov_b32 s18, s50
	s_mov_b64 s[80:81], s[70:71]
	s_mov_b64 s[82:83], s[20:21]
	s_cbranch_vccnz .LBB3_90
.LBB3_92:                               ;   Parent Loop BB3_4 Depth=1
                                        ;     Parent Loop BB3_91 Depth=2
                                        ; =>    This Inner Loop Header: Depth=3
	global_load_dwordx2 v[39:40], v38, s[82:83]
	global_load_dwordx4 v[12:15], v[9:10], off
	global_load_dwordx2 v[41:42], v38, s[80:81]
	s_add_u32 s82, s82, 8
	s_addc_u32 s83, s83, 0
	s_add_u32 s80, s80, 8
	s_addc_u32 s81, s81, 0
	s_add_i32 s18, s18, -1
	s_cmp_eq_u32 s18, 0
	s_waitcnt vmcnt(2)
	v_mul_f64 v[43:44], v[0:1], v[39:40]
	v_mul_f64 v[45:46], v[2:3], v[39:40]
	s_waitcnt vmcnt(1)
	v_mul_f64 v[47:48], v[39:40], v[12:13]
	v_mul_f64 v[39:40], v[39:40], v[14:15]
	s_waitcnt vmcnt(0)
	v_fma_f64 v[12:13], v[41:42], v[12:13], -v[43:44]
	v_fma_f64 v[14:15], v[41:42], v[14:15], -v[45:46]
	v_fma_f64 v[0:1], v[0:1], v[41:42], v[47:48]
	v_fma_f64 v[2:3], v[2:3], v[41:42], v[39:40]
	global_store_dwordx4 v[9:10], v[12:15], off
	v_add_co_u32_e32 v9, vcc, 16, v9
	v_addc_co_u32_e32 v10, vcc, 0, v10, vcc
	s_cbranch_scc0 .LBB3_92
	s_branch .LBB3_90
.LBB3_93:                               ;   in Loop: Header=BB3_4 Depth=1
	s_or_b64 exec, exec, s[76:77]
.LBB3_94:                               ;   in Loop: Header=BB3_4 Depth=1
	s_mov_b64 s[76:77], 0
.LBB3_95:                               ;   in Loop: Header=BB3_4 Depth=1
	s_andn2_b64 vcc, exec, s[76:77]
	s_cbranch_vccnz .LBB3_102
; %bb.96:                               ;   in Loop: Header=BB3_4 Depth=1
	s_and_saveexec_b64 s[76:77], s[2:3]
	s_cbranch_execz .LBB3_101
; %bb.97:                               ;   in Loop: Header=BB3_4 Depth=1
	s_lshl_b64 s[40:41], s[54:55], 4
	v_mov_b32_e32 v0, s42
	v_add_co_u32_e32 v5, vcc, s43, v26
	s_add_u32 s40, s45, s40
	v_addc_co_u32_e32 v6, vcc, v27, v0, vcc
	s_addc_u32 s41, s51, s41
	s_mov_b64 s[78:79], 0
	v_mov_b32_e32 v11, v4
	s_branch .LBB3_99
.LBB3_98:                               ;   in Loop: Header=BB3_99 Depth=2
	v_mov_b32_e32 v9, s51
	v_add_co_u32_e32 v7, vcc, s45, v7
	v_addc_co_u32_e32 v8, vcc, v9, v8, vcc
	v_add_u32_e32 v11, s58, v11
	v_cmp_le_i32_e32 vcc, s90, v11
	s_waitcnt vmcnt(0)
	global_store_dwordx4 v[7:8], v[0:3], off
	s_or_b64 s[78:79], vcc, s[78:79]
	v_mov_b32_e32 v0, s69
	v_add_co_u32_e32 v5, vcc, s68, v5
	v_addc_co_u32_e32 v6, vcc, v6, v0, vcc
	s_andn2_b64 exec, exec, s[78:79]
	s_cbranch_execz .LBB3_101
.LBB3_99:                               ;   Parent Loop BB3_4 Depth=1
                                        ; =>  This Loop Header: Depth=2
                                        ;       Child Loop BB3_100 Depth 3
	v_mad_i64_i32 v[0:1], s[80:81], v11, s24, 0
	v_mov_b32_e32 v2, s41
	v_mov_b32_e32 v10, v6
	v_lshlrev_b64 v[7:8], 4, v[0:1]
	v_mov_b32_e32 v9, v5
	v_add_co_u32_e32 v0, vcc, s40, v7
	v_addc_co_u32_e32 v1, vcc, v2, v8, vcc
	global_load_dwordx4 v[0:3], v[0:1], off offset:-16
	s_andn2_b64 vcc, exec, s[56:57]
	s_mov_b64 s[80:81], s[74:75]
	s_mov_b64 s[82:83], s[72:73]
	s_mov_b32 s18, s50
	s_cbranch_vccnz .LBB3_98
.LBB3_100:                              ;   Parent Loop BB3_4 Depth=1
                                        ;     Parent Loop BB3_99 Depth=2
                                        ; =>    This Inner Loop Header: Depth=3
	global_load_dwordx4 v[12:15], v[9:10], off
	global_load_dwordx2 v[39:40], v38, s[80:81]
	global_load_dwordx2 v[41:42], v38, s[82:83]
	s_add_i32 s18, s18, -1
	s_add_u32 s82, s82, -8
	s_addc_u32 s83, s83, -1
	s_add_u32 s80, s80, -8
	s_addc_u32 s81, s81, -1
	s_cmp_eq_u32 s18, 0
	s_waitcnt vmcnt(1)
	v_mul_f64 v[43:44], v[39:40], v[12:13]
	v_mul_f64 v[45:46], v[39:40], v[14:15]
	s_waitcnt vmcnt(0)
	v_mul_f64 v[47:48], v[41:42], v[12:13]
	v_mul_f64 v[49:50], v[41:42], v[14:15]
	v_fma_f64 v[12:13], v[0:1], v[41:42], -v[43:44]
	v_fma_f64 v[14:15], v[2:3], v[41:42], -v[45:46]
	v_fma_f64 v[0:1], v[0:1], v[39:40], v[47:48]
	v_fma_f64 v[2:3], v[2:3], v[39:40], v[49:50]
	global_store_dwordx4 v[9:10], v[12:15], off offset:16
	v_add_co_u32_e32 v9, vcc, -16, v9
	v_addc_co_u32_e32 v10, vcc, -1, v10, vcc
	s_cbranch_scc0 .LBB3_100
	s_branch .LBB3_98
.LBB3_101:                              ;   in Loop: Header=BB3_4 Depth=1
	s_or_b64 exec, exec, s[76:77]
.LBB3_102:                              ;   in Loop: Header=BB3_4 Depth=1
	s_cbranch_execnz .LBB3_3
.LBB3_103:                              ;   in Loop: Header=BB3_4 Depth=1
	s_and_saveexec_b64 s[72:73], s[2:3]
	s_cbranch_execz .LBB3_2
; %bb.104:                              ;   in Loop: Header=BB3_4 Depth=1
	s_lshl_b64 s[40:41], s[54:55], 4
	v_mov_b32_e32 v0, s42
	v_add_co_u32_e32 v5, vcc, s43, v36
	s_add_u32 s40, s45, s40
	v_addc_co_u32_e32 v6, vcc, v37, v0, vcc
	s_addc_u32 s41, s51, s41
	s_mov_b64 s[74:75], 0
	v_mov_b32_e32 v11, v4
	s_branch .LBB3_106
.LBB3_105:                              ;   in Loop: Header=BB3_106 Depth=2
	v_mov_b32_e32 v9, s41
	v_add_co_u32_e32 v7, vcc, s40, v7
	v_addc_co_u32_e32 v8, vcc, v9, v8, vcc
	v_add_u32_e32 v11, s58, v11
	v_cmp_le_i32_e32 vcc, s90, v11
	s_waitcnt vmcnt(0)
	global_store_dwordx4 v[7:8], v[0:3], off offset:-16
	s_or_b64 s[74:75], vcc, s[74:75]
	v_mov_b32_e32 v0, s69
	v_add_co_u32_e32 v5, vcc, s68, v5
	v_addc_co_u32_e32 v6, vcc, v6, v0, vcc
	s_andn2_b64 exec, exec, s[74:75]
	s_cbranch_execz .LBB3_2
.LBB3_106:                              ;   Parent Loop BB3_4 Depth=1
                                        ; =>  This Loop Header: Depth=2
                                        ;       Child Loop BB3_107 Depth 3
	v_mad_i64_i32 v[0:1], s[42:43], v11, s24, 0
	v_mov_b32_e32 v2, s51
	v_mov_b32_e32 v10, v6
	v_lshlrev_b64 v[7:8], 4, v[0:1]
	v_mov_b32_e32 v9, v5
	v_add_co_u32_e32 v0, vcc, s45, v7
	v_addc_co_u32_e32 v1, vcc, v2, v8, vcc
	global_load_dwordx4 v[0:3], v[0:1], off
	s_andn2_b64 vcc, exec, s[56:57]
	s_mov_b64 s[76:77], s[70:71]
	s_mov_b64 s[78:79], s[20:21]
	s_mov_b32 s18, s50
	s_cbranch_vccnz .LBB3_105
.LBB3_107:                              ;   Parent Loop BB3_4 Depth=1
                                        ;     Parent Loop BB3_106 Depth=2
                                        ; =>    This Inner Loop Header: Depth=3
	global_load_dwordx4 v[12:15], v[9:10], off offset:-8
	global_load_dwordx2 v[39:40], v38, s[78:79]
	global_load_dwordx2 v[43:44], v38, s[76:77]
	s_add_i32 s18, s18, -1
	s_add_u32 s78, s78, 8
	s_addc_u32 s79, s79, 0
	s_add_u32 s76, s76, 8
	s_addc_u32 s77, s77, 0
	s_cmp_eq_u32 s18, 0
	s_waitcnt vmcnt(1)
	v_mul_f64 v[41:42], v[39:40], v[12:13]
	v_mul_f64 v[45:46], v[39:40], v[14:15]
	v_mul_f64 v[47:48], v[0:1], v[39:40]
	v_mul_f64 v[49:50], v[2:3], v[39:40]
	s_waitcnt vmcnt(0)
	v_fma_f64 v[39:40], v[0:1], v[43:44], v[41:42]
	v_fma_f64 v[41:42], v[2:3], v[43:44], v[45:46]
	v_fma_f64 v[0:1], v[43:44], v[12:13], -v[47:48]
	v_fma_f64 v[2:3], v[43:44], v[14:15], -v[49:50]
	global_store_dwordx4 v[9:10], v[39:42], off offset:-24
	v_add_co_u32_e32 v9, vcc, 16, v9
	v_addc_co_u32_e32 v10, vcc, 0, v10, vcc
	s_cbranch_scc0 .LBB3_107
	s_branch .LBB3_105
.LBB3_108:
	s_endpgm
	.section	.rodata,"a",@progbits
	.p2align	6, 0x0
	.amdhsa_kernel _ZN9rocsolver6v33100L11lasr_kernelI19rocblas_complex_numIdEdPS3_iEEv13rocblas_side_14rocblas_pivot_15rocblas_direct_T2_S8_PT0_lSA_lT1_lS8_lS8_
		.amdhsa_group_segment_fixed_size 0
		.amdhsa_private_segment_fixed_size 0
		.amdhsa_kernarg_size 352
		.amdhsa_user_sgpr_count 6
		.amdhsa_user_sgpr_private_segment_buffer 1
		.amdhsa_user_sgpr_dispatch_ptr 0
		.amdhsa_user_sgpr_queue_ptr 0
		.amdhsa_user_sgpr_kernarg_segment_ptr 1
		.amdhsa_user_sgpr_dispatch_id 0
		.amdhsa_user_sgpr_flat_scratch_init 0
		.amdhsa_user_sgpr_private_segment_size 0
		.amdhsa_uses_dynamic_stack 0
		.amdhsa_system_sgpr_private_segment_wavefront_offset 0
		.amdhsa_system_sgpr_workgroup_id_x 1
		.amdhsa_system_sgpr_workgroup_id_y 0
		.amdhsa_system_sgpr_workgroup_id_z 1
		.amdhsa_system_sgpr_workgroup_info 0
		.amdhsa_system_vgpr_workitem_id 0
		.amdhsa_next_free_vgpr 57
		.amdhsa_next_free_sgpr 96
		.amdhsa_reserve_vcc 1
		.amdhsa_reserve_flat_scratch 0
		.amdhsa_float_round_mode_32 0
		.amdhsa_float_round_mode_16_64 0
		.amdhsa_float_denorm_mode_32 3
		.amdhsa_float_denorm_mode_16_64 3
		.amdhsa_dx10_clamp 1
		.amdhsa_ieee_mode 1
		.amdhsa_fp16_overflow 0
		.amdhsa_exception_fp_ieee_invalid_op 0
		.amdhsa_exception_fp_denorm_src 0
		.amdhsa_exception_fp_ieee_div_zero 0
		.amdhsa_exception_fp_ieee_overflow 0
		.amdhsa_exception_fp_ieee_underflow 0
		.amdhsa_exception_fp_ieee_inexact 0
		.amdhsa_exception_int_div_zero 0
	.end_amdhsa_kernel
	.section	.text._ZN9rocsolver6v33100L11lasr_kernelI19rocblas_complex_numIdEdPS3_iEEv13rocblas_side_14rocblas_pivot_15rocblas_direct_T2_S8_PT0_lSA_lT1_lS8_lS8_,"axG",@progbits,_ZN9rocsolver6v33100L11lasr_kernelI19rocblas_complex_numIdEdPS3_iEEv13rocblas_side_14rocblas_pivot_15rocblas_direct_T2_S8_PT0_lSA_lT1_lS8_lS8_,comdat
.Lfunc_end3:
	.size	_ZN9rocsolver6v33100L11lasr_kernelI19rocblas_complex_numIdEdPS3_iEEv13rocblas_side_14rocblas_pivot_15rocblas_direct_T2_S8_PT0_lSA_lT1_lS8_lS8_, .Lfunc_end3-_ZN9rocsolver6v33100L11lasr_kernelI19rocblas_complex_numIdEdPS3_iEEv13rocblas_side_14rocblas_pivot_15rocblas_direct_T2_S8_PT0_lSA_lT1_lS8_lS8_
                                        ; -- End function
	.set _ZN9rocsolver6v33100L11lasr_kernelI19rocblas_complex_numIdEdPS3_iEEv13rocblas_side_14rocblas_pivot_15rocblas_direct_T2_S8_PT0_lSA_lT1_lS8_lS8_.num_vgpr, 57
	.set _ZN9rocsolver6v33100L11lasr_kernelI19rocblas_complex_numIdEdPS3_iEEv13rocblas_side_14rocblas_pivot_15rocblas_direct_T2_S8_PT0_lSA_lT1_lS8_lS8_.num_agpr, 0
	.set _ZN9rocsolver6v33100L11lasr_kernelI19rocblas_complex_numIdEdPS3_iEEv13rocblas_side_14rocblas_pivot_15rocblas_direct_T2_S8_PT0_lSA_lT1_lS8_lS8_.numbered_sgpr, 96
	.set _ZN9rocsolver6v33100L11lasr_kernelI19rocblas_complex_numIdEdPS3_iEEv13rocblas_side_14rocblas_pivot_15rocblas_direct_T2_S8_PT0_lSA_lT1_lS8_lS8_.num_named_barrier, 0
	.set _ZN9rocsolver6v33100L11lasr_kernelI19rocblas_complex_numIdEdPS3_iEEv13rocblas_side_14rocblas_pivot_15rocblas_direct_T2_S8_PT0_lSA_lT1_lS8_lS8_.private_seg_size, 0
	.set _ZN9rocsolver6v33100L11lasr_kernelI19rocblas_complex_numIdEdPS3_iEEv13rocblas_side_14rocblas_pivot_15rocblas_direct_T2_S8_PT0_lSA_lT1_lS8_lS8_.uses_vcc, 1
	.set _ZN9rocsolver6v33100L11lasr_kernelI19rocblas_complex_numIdEdPS3_iEEv13rocblas_side_14rocblas_pivot_15rocblas_direct_T2_S8_PT0_lSA_lT1_lS8_lS8_.uses_flat_scratch, 0
	.set _ZN9rocsolver6v33100L11lasr_kernelI19rocblas_complex_numIdEdPS3_iEEv13rocblas_side_14rocblas_pivot_15rocblas_direct_T2_S8_PT0_lSA_lT1_lS8_lS8_.has_dyn_sized_stack, 0
	.set _ZN9rocsolver6v33100L11lasr_kernelI19rocblas_complex_numIdEdPS3_iEEv13rocblas_side_14rocblas_pivot_15rocblas_direct_T2_S8_PT0_lSA_lT1_lS8_lS8_.has_recursion, 0
	.set _ZN9rocsolver6v33100L11lasr_kernelI19rocblas_complex_numIdEdPS3_iEEv13rocblas_side_14rocblas_pivot_15rocblas_direct_T2_S8_PT0_lSA_lT1_lS8_lS8_.has_indirect_call, 0
	.section	.AMDGPU.csdata,"",@progbits
; Kernel info:
; codeLenInByte = 5004
; TotalNumSgprs: 100
; NumVgprs: 57
; ScratchSize: 0
; MemoryBound: 0
; FloatMode: 240
; IeeeMode: 1
; LDSByteSize: 0 bytes/workgroup (compile time only)
; SGPRBlocks: 12
; VGPRBlocks: 14
; NumSGPRsForWavesPerEU: 100
; NumVGPRsForWavesPerEU: 57
; Occupancy: 4
; WaveLimiterHint : 0
; COMPUTE_PGM_RSRC2:SCRATCH_EN: 0
; COMPUTE_PGM_RSRC2:USER_SGPR: 6
; COMPUTE_PGM_RSRC2:TRAP_HANDLER: 0
; COMPUTE_PGM_RSRC2:TGID_X_EN: 1
; COMPUTE_PGM_RSRC2:TGID_Y_EN: 0
; COMPUTE_PGM_RSRC2:TGID_Z_EN: 1
; COMPUTE_PGM_RSRC2:TIDIG_COMP_CNT: 0
	.section	.AMDGPU.gpr_maximums,"",@progbits
	.set amdgpu.max_num_vgpr, 0
	.set amdgpu.max_num_agpr, 0
	.set amdgpu.max_num_sgpr, 0
	.section	.AMDGPU.csdata,"",@progbits
	.type	__hip_cuid_a63f325831991752,@object ; @__hip_cuid_a63f325831991752
	.section	.bss,"aw",@nobits
	.globl	__hip_cuid_a63f325831991752
__hip_cuid_a63f325831991752:
	.byte	0                               ; 0x0
	.size	__hip_cuid_a63f325831991752, 1

	.ident	"AMD clang version 22.0.0git (https://github.com/RadeonOpenCompute/llvm-project roc-7.2.4 26084 f58b06dce1f9c15707c5f808fd002e18c2accf7e)"
	.section	".note.GNU-stack","",@progbits
	.addrsig
	.addrsig_sym __hip_cuid_a63f325831991752
	.amdgpu_metadata
---
amdhsa.kernels:
  - .args:
      - .offset:         0
        .size:           4
        .value_kind:     by_value
      - .offset:         4
        .size:           4
        .value_kind:     by_value
      - .offset:         8
        .size:           4
        .value_kind:     by_value
      - .offset:         12
        .size:           4
        .value_kind:     by_value
      - .offset:         16
        .size:           4
        .value_kind:     by_value
      - .address_space:  global
        .offset:         24
        .size:           8
        .value_kind:     global_buffer
      - .offset:         32
        .size:           8
        .value_kind:     by_value
      - .address_space:  global
        .offset:         40
        .size:           8
        .value_kind:     global_buffer
      - .offset:         48
        .size:           8
        .value_kind:     by_value
      - .address_space:  global
        .offset:         56
        .size:           8
        .value_kind:     global_buffer
      - .offset:         64
        .size:           8
        .value_kind:     by_value
      - .offset:         72
        .size:           4
        .value_kind:     by_value
      - .offset:         80
        .size:           8
        .value_kind:     by_value
      - .offset:         88
        .size:           4
        .value_kind:     by_value
      - .offset:         96
        .size:           4
        .value_kind:     hidden_block_count_x
      - .offset:         100
        .size:           4
        .value_kind:     hidden_block_count_y
      - .offset:         104
        .size:           4
        .value_kind:     hidden_block_count_z
      - .offset:         108
        .size:           2
        .value_kind:     hidden_group_size_x
      - .offset:         110
        .size:           2
        .value_kind:     hidden_group_size_y
      - .offset:         112
        .size:           2
        .value_kind:     hidden_group_size_z
      - .offset:         114
        .size:           2
        .value_kind:     hidden_remainder_x
      - .offset:         116
        .size:           2
        .value_kind:     hidden_remainder_y
      - .offset:         118
        .size:           2
        .value_kind:     hidden_remainder_z
      - .offset:         136
        .size:           8
        .value_kind:     hidden_global_offset_x
      - .offset:         144
        .size:           8
        .value_kind:     hidden_global_offset_y
      - .offset:         152
        .size:           8
        .value_kind:     hidden_global_offset_z
      - .offset:         160
        .size:           2
        .value_kind:     hidden_grid_dims
    .group_segment_fixed_size: 0
    .kernarg_segment_align: 8
    .kernarg_segment_size: 352
    .language:       OpenCL C
    .language_version:
      - 2
      - 0
    .max_flat_workgroup_size: 64
    .name:           _ZN9rocsolver6v33100L11lasr_kernelIffPfiEEv13rocblas_side_14rocblas_pivot_15rocblas_direct_T2_S6_PT0_lS8_lT1_lS6_lS6_
    .private_segment_fixed_size: 0
    .sgpr_count:     100
    .sgpr_spill_count: 11
    .symbol:         _ZN9rocsolver6v33100L11lasr_kernelIffPfiEEv13rocblas_side_14rocblas_pivot_15rocblas_direct_T2_S6_PT0_lS8_lT1_lS6_lS6_.kd
    .uniform_work_group_size: 1
    .uses_dynamic_stack: false
    .vgpr_count:     43
    .vgpr_spill_count: 0
    .wavefront_size: 64
  - .args:
      - .offset:         0
        .size:           4
        .value_kind:     by_value
      - .offset:         4
        .size:           4
        .value_kind:     by_value
      - .offset:         8
        .size:           4
        .value_kind:     by_value
      - .offset:         12
        .size:           4
        .value_kind:     by_value
      - .offset:         16
        .size:           4
        .value_kind:     by_value
      - .address_space:  global
        .offset:         24
        .size:           8
        .value_kind:     global_buffer
      - .offset:         32
        .size:           8
        .value_kind:     by_value
      - .address_space:  global
        .offset:         40
        .size:           8
        .value_kind:     global_buffer
      - .offset:         48
        .size:           8
        .value_kind:     by_value
      - .address_space:  global
        .offset:         56
        .size:           8
        .value_kind:     global_buffer
      - .offset:         64
        .size:           8
        .value_kind:     by_value
      - .offset:         72
        .size:           4
        .value_kind:     by_value
      - .offset:         80
        .size:           8
        .value_kind:     by_value
      - .offset:         88
        .size:           4
        .value_kind:     by_value
      - .offset:         96
        .size:           4
        .value_kind:     hidden_block_count_x
      - .offset:         100
        .size:           4
        .value_kind:     hidden_block_count_y
      - .offset:         104
        .size:           4
        .value_kind:     hidden_block_count_z
      - .offset:         108
        .size:           2
        .value_kind:     hidden_group_size_x
      - .offset:         110
        .size:           2
        .value_kind:     hidden_group_size_y
      - .offset:         112
        .size:           2
        .value_kind:     hidden_group_size_z
      - .offset:         114
        .size:           2
        .value_kind:     hidden_remainder_x
      - .offset:         116
        .size:           2
        .value_kind:     hidden_remainder_y
      - .offset:         118
        .size:           2
        .value_kind:     hidden_remainder_z
      - .offset:         136
        .size:           8
        .value_kind:     hidden_global_offset_x
      - .offset:         144
        .size:           8
        .value_kind:     hidden_global_offset_y
      - .offset:         152
        .size:           8
        .value_kind:     hidden_global_offset_z
      - .offset:         160
        .size:           2
        .value_kind:     hidden_grid_dims
    .group_segment_fixed_size: 0
    .kernarg_segment_align: 8
    .kernarg_segment_size: 352
    .language:       OpenCL C
    .language_version:
      - 2
      - 0
    .max_flat_workgroup_size: 64
    .name:           _ZN9rocsolver6v33100L11lasr_kernelIddPdiEEv13rocblas_side_14rocblas_pivot_15rocblas_direct_T2_S6_PT0_lS8_lT1_lS6_lS6_
    .private_segment_fixed_size: 0
    .sgpr_count:     100
    .sgpr_spill_count: 11
    .symbol:         _ZN9rocsolver6v33100L11lasr_kernelIddPdiEEv13rocblas_side_14rocblas_pivot_15rocblas_direct_T2_S6_PT0_lS8_lT1_lS6_lS6_.kd
    .uniform_work_group_size: 1
    .uses_dynamic_stack: false
    .vgpr_count:     46
    .vgpr_spill_count: 0
    .wavefront_size: 64
  - .args:
      - .offset:         0
        .size:           4
        .value_kind:     by_value
      - .offset:         4
        .size:           4
        .value_kind:     by_value
      - .offset:         8
        .size:           4
        .value_kind:     by_value
      - .offset:         12
        .size:           4
        .value_kind:     by_value
      - .offset:         16
        .size:           4
        .value_kind:     by_value
      - .address_space:  global
        .offset:         24
        .size:           8
        .value_kind:     global_buffer
      - .offset:         32
        .size:           8
        .value_kind:     by_value
      - .address_space:  global
        .offset:         40
        .size:           8
        .value_kind:     global_buffer
      - .offset:         48
        .size:           8
        .value_kind:     by_value
      - .address_space:  global
        .offset:         56
        .size:           8
        .value_kind:     global_buffer
      - .offset:         64
        .size:           8
        .value_kind:     by_value
      - .offset:         72
        .size:           4
        .value_kind:     by_value
      - .offset:         80
        .size:           8
        .value_kind:     by_value
      - .offset:         88
        .size:           4
        .value_kind:     by_value
      - .offset:         96
        .size:           4
        .value_kind:     hidden_block_count_x
      - .offset:         100
        .size:           4
        .value_kind:     hidden_block_count_y
      - .offset:         104
        .size:           4
        .value_kind:     hidden_block_count_z
      - .offset:         108
        .size:           2
        .value_kind:     hidden_group_size_x
      - .offset:         110
        .size:           2
        .value_kind:     hidden_group_size_y
      - .offset:         112
        .size:           2
        .value_kind:     hidden_group_size_z
      - .offset:         114
        .size:           2
        .value_kind:     hidden_remainder_x
      - .offset:         116
        .size:           2
        .value_kind:     hidden_remainder_y
      - .offset:         118
        .size:           2
        .value_kind:     hidden_remainder_z
      - .offset:         136
        .size:           8
        .value_kind:     hidden_global_offset_x
      - .offset:         144
        .size:           8
        .value_kind:     hidden_global_offset_y
      - .offset:         152
        .size:           8
        .value_kind:     hidden_global_offset_z
      - .offset:         160
        .size:           2
        .value_kind:     hidden_grid_dims
    .group_segment_fixed_size: 0
    .kernarg_segment_align: 8
    .kernarg_segment_size: 352
    .language:       OpenCL C
    .language_version:
      - 2
      - 0
    .max_flat_workgroup_size: 64
    .name:           _ZN9rocsolver6v33100L11lasr_kernelI19rocblas_complex_numIfEfPS3_iEEv13rocblas_side_14rocblas_pivot_15rocblas_direct_T2_S8_PT0_lSA_lT1_lS8_lS8_
    .private_segment_fixed_size: 0
    .sgpr_count:     100
    .sgpr_spill_count: 11
    .symbol:         _ZN9rocsolver6v33100L11lasr_kernelI19rocblas_complex_numIfEfPS3_iEEv13rocblas_side_14rocblas_pivot_15rocblas_direct_T2_S8_PT0_lSA_lT1_lS8_lS8_.kd
    .uniform_work_group_size: 1
    .uses_dynamic_stack: false
    .vgpr_count:     47
    .vgpr_spill_count: 0
    .wavefront_size: 64
  - .args:
      - .offset:         0
        .size:           4
        .value_kind:     by_value
      - .offset:         4
        .size:           4
        .value_kind:     by_value
      - .offset:         8
        .size:           4
        .value_kind:     by_value
      - .offset:         12
        .size:           4
        .value_kind:     by_value
      - .offset:         16
        .size:           4
        .value_kind:     by_value
      - .address_space:  global
        .offset:         24
        .size:           8
        .value_kind:     global_buffer
      - .offset:         32
        .size:           8
        .value_kind:     by_value
      - .address_space:  global
        .offset:         40
        .size:           8
        .value_kind:     global_buffer
      - .offset:         48
        .size:           8
        .value_kind:     by_value
      - .address_space:  global
        .offset:         56
        .size:           8
        .value_kind:     global_buffer
      - .offset:         64
        .size:           8
        .value_kind:     by_value
      - .offset:         72
        .size:           4
        .value_kind:     by_value
      - .offset:         80
        .size:           8
        .value_kind:     by_value
      - .offset:         88
        .size:           4
        .value_kind:     by_value
      - .offset:         96
        .size:           4
        .value_kind:     hidden_block_count_x
      - .offset:         100
        .size:           4
        .value_kind:     hidden_block_count_y
      - .offset:         104
        .size:           4
        .value_kind:     hidden_block_count_z
      - .offset:         108
        .size:           2
        .value_kind:     hidden_group_size_x
      - .offset:         110
        .size:           2
        .value_kind:     hidden_group_size_y
      - .offset:         112
        .size:           2
        .value_kind:     hidden_group_size_z
      - .offset:         114
        .size:           2
        .value_kind:     hidden_remainder_x
      - .offset:         116
        .size:           2
        .value_kind:     hidden_remainder_y
      - .offset:         118
        .size:           2
        .value_kind:     hidden_remainder_z
      - .offset:         136
        .size:           8
        .value_kind:     hidden_global_offset_x
      - .offset:         144
        .size:           8
        .value_kind:     hidden_global_offset_y
      - .offset:         152
        .size:           8
        .value_kind:     hidden_global_offset_z
      - .offset:         160
        .size:           2
        .value_kind:     hidden_grid_dims
    .group_segment_fixed_size: 0
    .kernarg_segment_align: 8
    .kernarg_segment_size: 352
    .language:       OpenCL C
    .language_version:
      - 2
      - 0
    .max_flat_workgroup_size: 64
    .name:           _ZN9rocsolver6v33100L11lasr_kernelI19rocblas_complex_numIdEdPS3_iEEv13rocblas_side_14rocblas_pivot_15rocblas_direct_T2_S8_PT0_lSA_lT1_lS8_lS8_
    .private_segment_fixed_size: 0
    .sgpr_count:     100
    .sgpr_spill_count: 11
    .symbol:         _ZN9rocsolver6v33100L11lasr_kernelI19rocblas_complex_numIdEdPS3_iEEv13rocblas_side_14rocblas_pivot_15rocblas_direct_T2_S8_PT0_lSA_lT1_lS8_lS8_.kd
    .uniform_work_group_size: 1
    .uses_dynamic_stack: false
    .vgpr_count:     57
    .vgpr_spill_count: 0
    .wavefront_size: 64
amdhsa.target:   amdgcn-amd-amdhsa--gfx906
amdhsa.version:
  - 1
  - 2
...

	.end_amdgpu_metadata
